;; amdgpu-corpus repo=ROCm/rocFFT kind=compiled arch=gfx906 opt=O3
	.text
	.amdgcn_target "amdgcn-amd-amdhsa--gfx906"
	.amdhsa_code_object_version 6
	.protected	bluestein_single_fwd_len450_dim1_sp_op_CI_CI ; -- Begin function bluestein_single_fwd_len450_dim1_sp_op_CI_CI
	.globl	bluestein_single_fwd_len450_dim1_sp_op_CI_CI
	.p2align	8
	.type	bluestein_single_fwd_len450_dim1_sp_op_CI_CI,@function
bluestein_single_fwd_len450_dim1_sp_op_CI_CI: ; @bluestein_single_fwd_len450_dim1_sp_op_CI_CI
; %bb.0:
	s_load_dwordx4 s[8:11], s[4:5], 0x28
	v_mul_u32_u24_e32 v1, 0x889, v0
	v_lshrrev_b32_e32 v2, 16, v1
	v_lshl_add_u32 v116, s6, 2, v2
	v_mov_b32_e32 v117, 0
	s_waitcnt lgkmcnt(0)
	v_cmp_gt_u64_e32 vcc, s[8:9], v[116:117]
	s_and_saveexec_b64 s[0:1], vcc
	s_cbranch_execz .LBB0_15
; %bb.1:
	s_load_dwordx4 s[0:3], s[4:5], 0x18
	v_mul_lo_u16_e32 v1, 30, v2
	v_sub_u16_e32 v130, v0, v1
	v_lshlrev_b32_e32 v23, 3, v130
	s_load_dwordx2 s[6:7], s[4:5], 0x38
	s_waitcnt lgkmcnt(0)
	s_load_dwordx4 s[12:15], s[0:1], 0x0
	s_waitcnt lgkmcnt(0)
	v_mad_u64_u32 v[0:1], s[0:1], s14, v116, 0
	v_mad_u64_u32 v[3:4], s[0:1], s12, v130, 0
	;; [unrolled: 1-line block ×3, first 2 shown]
	s_load_dwordx2 s[14:15], s[4:5], 0x0
	v_and_b32_e32 v2, 3, v2
	v_mad_u64_u32 v[6:7], s[0:1], s13, v130, v[4:5]
	v_mov_b32_e32 v1, v5
	v_lshlrev_b64 v[0:1], 3, v[0:1]
	v_mov_b32_e32 v7, s11
	v_mov_b32_e32 v4, v6
	v_add_co_u32_e32 v5, vcc, s10, v0
	v_addc_co_u32_e32 v6, vcc, v7, v1, vcc
	v_lshlrev_b64 v[0:1], 3, v[3:4]
	s_mul_i32 s0, s13, 45
	s_mul_hi_u32 s1, s12, 45
	v_add_co_u32_e32 v0, vcc, v5, v0
	s_add_i32 s1, s1, s0
	s_mul_i32 s0, s12, 45
	v_addc_co_u32_e32 v1, vcc, v6, v1, vcc
	s_lshl_b64 s[16:17], s[0:1], 3
	v_mov_b32_e32 v21, s17
	v_add_co_u32_e32 v3, vcc, s16, v0
	v_addc_co_u32_e32 v4, vcc, v1, v21, vcc
	v_add_co_u32_e32 v5, vcc, s16, v3
	v_addc_co_u32_e32 v6, vcc, v4, v21, vcc
	v_add_co_u32_e32 v7, vcc, s16, v5
	s_waitcnt lgkmcnt(0)
	global_load_dwordx2 v[125:126], v23, s[14:15]
	v_addc_co_u32_e32 v8, vcc, v6, v21, vcc
	global_load_dwordx2 v[9:10], v[0:1], off
	global_load_dwordx2 v[11:12], v[3:4], off
	;; [unrolled: 1-line block ×4, first 2 shown]
	global_load_dwordx2 v[127:128], v23, s[14:15] offset:360
	global_load_dwordx2 v[123:124], v23, s[14:15] offset:720
	;; [unrolled: 1-line block ×3, first 2 shown]
	v_add_co_u32_e32 v0, vcc, s16, v7
	v_addc_co_u32_e32 v1, vcc, v8, v21, vcc
	global_load_dwordx2 v[3:4], v[0:1], off
	v_add_co_u32_e32 v0, vcc, s16, v0
	v_addc_co_u32_e32 v1, vcc, v1, v21, vcc
	global_load_dwordx2 v[5:6], v[0:1], off
	global_load_dwordx2 v[121:122], v23, s[14:15] offset:1440
	global_load_dwordx2 v[117:118], v23, s[14:15] offset:1800
	v_add_co_u32_e32 v0, vcc, s16, v0
	v_addc_co_u32_e32 v1, vcc, v1, v21, vcc
	global_load_dwordx2 v[7:8], v[0:1], off
	v_add_co_u32_e32 v0, vcc, s16, v0
	v_addc_co_u32_e32 v1, vcc, v1, v21, vcc
	global_load_dwordx2 v[114:115], v23, s[14:15] offset:2160
	global_load_dwordx2 v[17:18], v[0:1], off
	global_load_dwordx2 v[112:113], v23, s[14:15] offset:2520
	v_add_co_u32_e32 v0, vcc, s16, v0
	v_addc_co_u32_e32 v1, vcc, v1, v21, vcc
	global_load_dwordx2 v[19:20], v[0:1], off
	global_load_dwordx2 v[110:111], v23, s[14:15] offset:2880
	v_add_co_u32_e32 v0, vcc, s16, v0
	v_addc_co_u32_e32 v1, vcc, v1, v21, vcc
	global_load_dwordx2 v[108:109], v23, s[14:15] offset:3240
	global_load_dwordx2 v[21:22], v[0:1], off
	v_mul_u32_u24_e32 v2, 0x1c2, v2
	v_lshlrev_b32_e32 v131, 3, v2
	v_mov_b32_e32 v2, s15
	v_add_co_u32_e32 v106, vcc, s14, v23
	v_add_u32_e32 v129, v131, v23
	v_addc_co_u32_e32 v107, vcc, 0, v2, vcc
	s_load_dwordx4 s[8:11], s[2:3], 0x0
	v_cmp_gt_u16_e64 s[0:1], 15, v130
	s_waitcnt vmcnt(18)
	v_mul_f32_e32 v23, v10, v126
	v_mul_f32_e32 v2, v9, v126
	v_fmac_f32_e32 v23, v9, v125
	v_fma_f32 v24, v10, v125, -v2
	s_waitcnt vmcnt(14)
	v_mul_f32_e32 v9, v12, v128
	v_mul_f32_e32 v2, v11, v128
	v_fmac_f32_e32 v9, v11, v127
	v_fma_f32 v10, v12, v127, -v2
	s_waitcnt vmcnt(13)
	v_mul_f32_e32 v2, v13, v124
	ds_write2_b64 v129, v[23:24], v[9:10] offset1:45
	v_fma_f32 v10, v14, v123, -v2
	s_waitcnt vmcnt(12)
	v_mul_f32_e32 v2, v15, v120
	v_fma_f32 v12, v16, v119, -v2
	s_waitcnt vmcnt(9)
	v_mul_f32_e32 v2, v4, v122
	v_fmac_f32_e32 v2, v3, v121
	v_mul_f32_e32 v3, v3, v122
	v_fma_f32 v3, v4, v121, -v3
	s_waitcnt vmcnt(8)
	v_mul_f32_e32 v4, v6, v118
	v_fmac_f32_e32 v4, v5, v117
	v_mul_f32_e32 v5, v5, v118
	v_fma_f32 v5, v6, v117, -v5
	ds_write2_b64 v129, v[2:3], v[4:5] offset0:180 offset1:225
	s_waitcnt vmcnt(6)
	v_mul_f32_e32 v2, v7, v115
	v_mul_f32_e32 v3, v8, v115
	v_fma_f32 v4, v8, v114, -v2
	s_waitcnt vmcnt(4)
	v_mul_f32_e32 v5, v18, v113
	v_mul_f32_e32 v2, v17, v113
	v_fmac_f32_e32 v3, v7, v114
	v_fmac_f32_e32 v5, v17, v112
	v_fma_f32 v6, v18, v112, -v2
	v_add_u32_e32 v2, 0x800, v129
	v_mul_f32_e32 v9, v14, v124
	v_mul_f32_e32 v11, v16, v120
	ds_write2_b64 v2, v[3:4], v[5:6] offset0:14 offset1:59
	s_waitcnt vmcnt(2)
	v_mul_f32_e32 v3, v20, v111
	v_mul_f32_e32 v4, v19, v111
	s_waitcnt vmcnt(0)
	v_mul_f32_e32 v5, v22, v109
	v_mul_f32_e32 v6, v21, v109
	v_fmac_f32_e32 v9, v13, v123
	v_fmac_f32_e32 v11, v15, v119
	;; [unrolled: 1-line block ×3, first 2 shown]
	v_fma_f32 v4, v20, v110, -v4
	v_fmac_f32_e32 v5, v21, v108
	v_fma_f32 v6, v22, v108, -v6
	ds_write2_b64 v129, v[9:10], v[11:12] offset0:90 offset1:135
	ds_write2_b64 v2, v[3:4], v[5:6] offset0:104 offset1:149
	s_and_saveexec_b64 s[2:3], s[0:1]
	s_cbranch_execz .LBB0_3
; %bb.2:
	v_mov_b32_e32 v3, 0xfffff448
	v_mad_u64_u32 v[0:1], s[18:19], s12, v3, v[0:1]
	s_mulk_i32 s13, 0xf448
	s_sub_i32 s12, s13, s12
	v_add_u32_e32 v1, s12, v1
	global_load_dwordx2 v[3:4], v[0:1], off
	v_mov_b32_e32 v39, s17
	v_add_co_u32_e32 v0, vcc, s16, v0
	v_addc_co_u32_e32 v1, vcc, v1, v39, vcc
	global_load_dwordx2 v[5:6], v[0:1], off
	v_add_co_u32_e32 v0, vcc, s16, v0
	v_addc_co_u32_e32 v1, vcc, v1, v39, vcc
	global_load_dwordx2 v[7:8], v[0:1], off
	v_add_co_u32_e32 v0, vcc, s16, v0
	v_addc_co_u32_e32 v1, vcc, v1, v39, vcc
	global_load_dwordx2 v[9:10], v[106:107], off offset:240
	global_load_dwordx2 v[11:12], v[0:1], off
	global_load_dwordx2 v[13:14], v[106:107], off offset:600
	global_load_dwordx2 v[15:16], v[106:107], off offset:960
	;; [unrolled: 1-line block ×3, first 2 shown]
	v_add_co_u32_e32 v0, vcc, s16, v0
	v_addc_co_u32_e32 v1, vcc, v1, v39, vcc
	global_load_dwordx2 v[19:20], v[0:1], off
	v_add_co_u32_e32 v0, vcc, s16, v0
	v_addc_co_u32_e32 v1, vcc, v1, v39, vcc
	global_load_dwordx2 v[21:22], v[0:1], off
	global_load_dwordx2 v[23:24], v[106:107], off offset:1680
	global_load_dwordx2 v[25:26], v[106:107], off offset:2040
	v_add_co_u32_e32 v0, vcc, s16, v0
	v_addc_co_u32_e32 v1, vcc, v1, v39, vcc
	global_load_dwordx2 v[27:28], v[0:1], off
	v_add_co_u32_e32 v0, vcc, s16, v0
	v_addc_co_u32_e32 v1, vcc, v1, v39, vcc
	global_load_dwordx2 v[29:30], v[106:107], off offset:2400
	global_load_dwordx2 v[31:32], v[0:1], off
	global_load_dwordx2 v[33:34], v[106:107], off offset:2760
	v_add_co_u32_e32 v0, vcc, s16, v0
	v_addc_co_u32_e32 v1, vcc, v1, v39, vcc
	global_load_dwordx2 v[35:36], v[0:1], off
	global_load_dwordx2 v[37:38], v[106:107], off offset:3120
	v_add_co_u32_e32 v0, vcc, s16, v0
	v_addc_co_u32_e32 v1, vcc, v1, v39, vcc
	global_load_dwordx2 v[39:40], v[106:107], off offset:3480
	global_load_dwordx2 v[41:42], v[0:1], off
	s_waitcnt vmcnt(16)
	v_mul_f32_e32 v0, v4, v10
	v_mul_f32_e32 v1, v3, v10
	v_fmac_f32_e32 v0, v3, v9
	v_fma_f32 v1, v4, v9, -v1
	s_waitcnt vmcnt(14)
	v_mul_f32_e32 v3, v6, v14
	v_mul_f32_e32 v4, v5, v14
	v_fmac_f32_e32 v3, v5, v13
	v_fma_f32 v4, v6, v13, -v4
	s_waitcnt vmcnt(13)
	v_mul_f32_e32 v5, v8, v16
	v_mul_f32_e32 v6, v7, v16
	ds_write2_b64 v129, v[0:1], v[3:4] offset0:30 offset1:75
	s_waitcnt vmcnt(12)
	v_mul_f32_e32 v0, v12, v18
	v_mul_f32_e32 v1, v11, v18
	v_fmac_f32_e32 v5, v7, v15
	v_fma_f32 v6, v8, v15, -v6
	v_fmac_f32_e32 v0, v11, v17
	v_fma_f32 v1, v12, v17, -v1
	s_waitcnt vmcnt(9)
	v_mul_f32_e32 v3, v20, v24
	v_mul_f32_e32 v4, v19, v24
	ds_write2_b64 v129, v[5:6], v[0:1] offset0:120 offset1:165
	s_waitcnt vmcnt(8)
	v_mul_f32_e32 v0, v22, v26
	v_mul_f32_e32 v1, v21, v26
	v_fmac_f32_e32 v3, v19, v23
	v_fma_f32 v4, v20, v23, -v4
	;; [unrolled: 11-line block ×3, first 2 shown]
	v_fmac_f32_e32 v0, v31, v33
	v_fma_f32 v1, v32, v33, -v1
	ds_write2_b64 v2, v[5:6], v[0:1] offset0:44 offset1:89
	s_waitcnt vmcnt(2)
	v_mul_f32_e32 v0, v36, v38
	v_mul_f32_e32 v1, v35, v38
	s_waitcnt vmcnt(0)
	v_mul_f32_e32 v3, v42, v40
	v_mul_f32_e32 v4, v41, v40
	v_fmac_f32_e32 v0, v35, v37
	v_fma_f32 v1, v36, v37, -v1
	v_fmac_f32_e32 v3, v41, v39
	v_fma_f32 v4, v42, v39, -v4
	ds_write2_b64 v2, v[0:1], v[3:4] offset0:134 offset1:179
.LBB0_3:
	s_or_b64 exec, exec, s[2:3]
	s_waitcnt lgkmcnt(0)
	s_barrier
	ds_read2_b64 v[20:23], v129 offset1:45
	ds_read2_b64 v[24:27], v129 offset0:90 offset1:135
	ds_read2_b64 v[28:31], v129 offset0:180 offset1:225
	;; [unrolled: 1-line block ×4, first 2 shown]
	s_load_dwordx2 s[2:3], s[4:5], 0x8
                                        ; implicit-def: $vgpr8
                                        ; implicit-def: $vgpr0
                                        ; implicit-def: $vgpr4
                                        ; implicit-def: $vgpr12
                                        ; implicit-def: $vgpr16
	s_and_saveexec_b64 s[4:5], s[0:1]
	s_cbranch_execz .LBB0_5
; %bb.4:
	ds_read2_b64 v[8:11], v129 offset0:30 offset1:75
	ds_read2_b64 v[0:3], v129 offset0:120 offset1:165
	;; [unrolled: 1-line block ×3, first 2 shown]
	v_add_u32_e32 v16, 0x800, v129
	ds_read2_b64 v[12:15], v16 offset0:44 offset1:89
	ds_read2_b64 v[16:19], v16 offset0:134 offset1:179
.LBB0_5:
	s_or_b64 exec, exec, s[4:5]
	s_waitcnt lgkmcnt(0)
	v_add_f32_e32 v41, v20, v24
	v_add_f32_e32 v41, v41, v28
	;; [unrolled: 1-line block ×5, first 2 shown]
	v_fma_f32 v44, -0.5, v41, v20
	v_sub_f32_e32 v41, v25, v37
	v_mov_b32_e32 v45, v44
	v_fmac_f32_e32 v45, 0x3f737871, v41
	v_sub_f32_e32 v42, v29, v33
	v_sub_f32_e32 v46, v24, v28
	;; [unrolled: 1-line block ×3, first 2 shown]
	v_fmac_f32_e32 v44, 0xbf737871, v41
	v_fmac_f32_e32 v45, 0x3f167918, v42
	v_add_f32_e32 v46, v46, v47
	v_fmac_f32_e32 v44, 0xbf167918, v42
	v_fmac_f32_e32 v45, 0x3e9e377a, v46
	;; [unrolled: 1-line block ×3, first 2 shown]
	v_add_f32_e32 v46, v24, v36
	v_fma_f32 v20, -0.5, v46, v20
	v_mov_b32_e32 v46, v20
	v_fmac_f32_e32 v46, 0xbf737871, v42
	v_fmac_f32_e32 v20, 0x3f737871, v42
	;; [unrolled: 1-line block ×4, first 2 shown]
	v_add_f32_e32 v41, v21, v25
	v_add_f32_e32 v41, v41, v29
	v_sub_f32_e32 v47, v28, v24
	v_sub_f32_e32 v48, v32, v36
	v_add_f32_e32 v41, v41, v33
	v_add_f32_e32 v47, v47, v48
	;; [unrolled: 1-line block ×4, first 2 shown]
	v_fma_f32 v52, -0.5, v41, v21
	v_sub_f32_e32 v24, v24, v36
	v_mov_b32_e32 v50, v52
	v_fmac_f32_e32 v50, 0xbf737871, v24
	v_sub_f32_e32 v28, v28, v32
	v_sub_f32_e32 v32, v25, v29
	;; [unrolled: 1-line block ×3, first 2 shown]
	v_fmac_f32_e32 v52, 0x3f737871, v24
	v_fmac_f32_e32 v50, 0xbf167918, v28
	v_add_f32_e32 v32, v32, v36
	v_fmac_f32_e32 v52, 0x3f167918, v28
	v_fmac_f32_e32 v50, 0x3e9e377a, v32
	;; [unrolled: 1-line block ×3, first 2 shown]
	v_add_f32_e32 v32, v25, v37
	v_fma_f32 v21, -0.5, v32, v21
	v_mov_b32_e32 v53, v21
	v_fmac_f32_e32 v53, 0x3f737871, v28
	v_sub_f32_e32 v25, v29, v25
	v_sub_f32_e32 v29, v33, v37
	v_fmac_f32_e32 v21, 0xbf737871, v28
	v_fmac_f32_e32 v53, 0xbf167918, v24
	v_add_f32_e32 v25, v25, v29
	v_fmac_f32_e32 v21, 0x3f167918, v24
	v_fmac_f32_e32 v53, 0x3e9e377a, v25
	;; [unrolled: 1-line block ×3, first 2 shown]
	v_add_f32_e32 v25, v30, v34
	v_fma_f32 v25, -0.5, v25, v22
	v_sub_f32_e32 v28, v27, v39
	v_mov_b32_e32 v29, v25
	v_fmac_f32_e32 v29, 0x3f737871, v28
	v_sub_f32_e32 v32, v31, v35
	v_sub_f32_e32 v33, v26, v30
	;; [unrolled: 1-line block ×3, first 2 shown]
	v_fmac_f32_e32 v25, 0xbf737871, v28
	v_fmac_f32_e32 v29, 0x3f167918, v32
	v_add_f32_e32 v33, v33, v36
	v_fmac_f32_e32 v25, 0xbf167918, v32
	v_fmac_f32_e32 v29, 0x3e9e377a, v33
	;; [unrolled: 1-line block ×3, first 2 shown]
	v_add_f32_e32 v33, v26, v38
	v_add_f32_e32 v24, v22, v26
	v_fma_f32 v22, -0.5, v33, v22
	v_mov_b32_e32 v37, v22
	v_fmac_f32_e32 v37, 0xbf737871, v32
	v_sub_f32_e32 v33, v30, v26
	v_sub_f32_e32 v36, v34, v38
	v_fmac_f32_e32 v22, 0x3f737871, v32
	v_add_f32_e32 v32, v31, v35
	v_fmac_f32_e32 v37, 0x3f167918, v28
	v_add_f32_e32 v33, v33, v36
	v_fmac_f32_e32 v22, 0xbf167918, v28
	v_fma_f32 v42, -0.5, v32, v23
	v_add_f32_e32 v24, v24, v30
	v_fmac_f32_e32 v37, 0x3e9e377a, v33
	v_fmac_f32_e32 v22, 0x3e9e377a, v33
	v_sub_f32_e32 v26, v26, v38
	v_mov_b32_e32 v33, v42
	v_add_f32_e32 v24, v24, v34
	v_fmac_f32_e32 v33, 0xbf737871, v26
	v_sub_f32_e32 v30, v30, v34
	v_sub_f32_e32 v32, v27, v31
	v_sub_f32_e32 v34, v39, v35
	v_fmac_f32_e32 v42, 0x3f737871, v26
	v_fmac_f32_e32 v33, 0xbf167918, v30
	v_add_f32_e32 v32, v32, v34
	v_fmac_f32_e32 v42, 0x3f167918, v30
	v_fmac_f32_e32 v33, 0x3e9e377a, v32
	;; [unrolled: 1-line block ×3, first 2 shown]
	v_add_f32_e32 v32, v27, v39
	v_add_f32_e32 v28, v23, v27
	v_fmac_f32_e32 v23, -0.5, v32
	v_add_f32_e32 v24, v24, v38
	v_mov_b32_e32 v38, v23
	v_add_co_u32_e32 v58, vcc, 30, v130
	v_add_f32_e32 v28, v28, v31
	v_fmac_f32_e32 v38, 0x3f737871, v30
	v_sub_f32_e32 v27, v31, v27
	v_sub_f32_e32 v31, v35, v39
	v_fmac_f32_e32 v23, 0xbf737871, v30
	v_addc_co_u32_e64 v40, s[4:5], 0, 0, vcc
	v_fmac_f32_e32 v38, 0xbf167918, v26
	v_add_f32_e32 v27, v27, v31
	v_fmac_f32_e32 v23, 0x3f167918, v26
	s_mov_b32 s4, 0x3f737871
	v_add_f32_e32 v28, v28, v35
	v_fmac_f32_e32 v38, 0x3e9e377a, v27
	v_fmac_f32_e32 v23, 0x3e9e377a, v27
	v_mul_f32_e32 v31, 0x3e9e377a, v22
	s_mov_b32 s12, 0xbf737871
	v_add_f32_e32 v28, v28, v39
	v_mul_f32_e32 v26, 0x3f4f1bbd, v29
	v_mul_f32_e32 v27, 0x3f737871, v38
	v_fma_f32 v39, v23, s4, -v31
	v_mul_f32_e32 v29, 0xbf167918, v29
	v_mul_f32_e32 v23, 0x3e9e377a, v23
	v_fmac_f32_e32 v46, 0x3e9e377a, v47
	v_fmac_f32_e32 v27, 0x3e9e377a, v37
	;; [unrolled: 1-line block ×3, first 2 shown]
	v_fma_f32 v22, v22, s12, -v23
	v_fmac_f32_e32 v20, 0x3e9e377a, v47
	v_fmac_f32_e32 v26, 0x3f167918, v33
	v_add_f32_e32 v34, v46, v27
	v_add_f32_e32 v33, v50, v29
	v_mul_f32_e32 v54, 0xbf737871, v37
	v_add_f32_e32 v37, v21, v22
	v_sub_f32_e32 v47, v46, v27
	v_sub_f32_e32 v46, v50, v29
	;; [unrolled: 1-line block ×3, first 2 shown]
	v_add_f32_e32 v21, v4, v12
	s_mov_b32 s13, 0xbf167918
	v_mul_f32_e32 v23, 0x3f4f1bbd, v42
	v_fma_f32 v22, -0.5, v21, v8
	s_mov_b32 s5, 0x3f167918
	v_add_f32_e32 v30, v43, v24
	v_mul_f32_e32 v31, 0x3f4f1bbd, v25
	v_fma_f32 v23, v25, s13, -v23
	v_sub_f32_e32 v43, v43, v24
	v_sub_f32_e32 v24, v1, v17
	v_mov_b32_e32 v21, v22
	v_add_f32_e32 v32, v45, v26
	v_fma_f32 v51, v42, s5, -v31
	v_add_f32_e32 v42, v52, v23
	v_sub_f32_e32 v45, v45, v26
	v_sub_f32_e32 v52, v52, v23
	v_fmac_f32_e32 v21, 0x3f737871, v24
	v_sub_f32_e32 v25, v5, v13
	v_sub_f32_e32 v23, v0, v4
	;; [unrolled: 1-line block ×3, first 2 shown]
	v_fmac_f32_e32 v22, 0xbf737871, v24
	v_fmac_f32_e32 v21, 0x3f167918, v25
	v_add_f32_e32 v23, v23, v26
	v_fmac_f32_e32 v22, 0xbf167918, v25
	v_fmac_f32_e32 v21, 0x3e9e377a, v23
	;; [unrolled: 1-line block ×3, first 2 shown]
	v_add_f32_e32 v23, v0, v16
	v_add_f32_e32 v36, v20, v39
	v_sub_f32_e32 v49, v20, v39
	v_add_f32_e32 v20, v8, v0
	v_fmac_f32_e32 v8, -0.5, v23
	v_mov_b32_e32 v23, v8
	v_add_f32_e32 v20, v20, v4
	v_fmac_f32_e32 v23, 0xbf737871, v25
	v_fmac_f32_e32 v8, 0x3f737871, v25
	v_add_f32_e32 v25, v5, v13
	v_add_f32_e32 v20, v20, v12
	v_sub_f32_e32 v26, v4, v0
	v_sub_f32_e32 v27, v12, v16
	v_fma_f32 v25, -0.5, v25, v9
	v_add_f32_e32 v20, v20, v16
	v_fmac_f32_e32 v23, 0x3f167918, v24
	v_add_f32_e32 v26, v26, v27
	v_fmac_f32_e32 v8, 0xbf167918, v24
	v_sub_f32_e32 v0, v0, v16
	v_mov_b32_e32 v16, v25
	v_fmac_f32_e32 v23, 0x3e9e377a, v26
	v_fmac_f32_e32 v8, 0x3e9e377a, v26
	;; [unrolled: 1-line block ×3, first 2 shown]
	v_sub_f32_e32 v4, v4, v12
	v_sub_f32_e32 v12, v1, v5
	;; [unrolled: 1-line block ×3, first 2 shown]
	v_fmac_f32_e32 v25, 0x3f737871, v0
	v_fmac_f32_e32 v16, 0xbf167918, v4
	v_add_f32_e32 v12, v12, v26
	v_fmac_f32_e32 v25, 0x3f167918, v4
	v_fmac_f32_e32 v16, 0x3e9e377a, v12
	;; [unrolled: 1-line block ×3, first 2 shown]
	v_add_f32_e32 v12, v1, v17
	v_add_f32_e32 v24, v9, v1
	v_fmac_f32_e32 v9, -0.5, v12
	v_mov_b32_e32 v26, v9
	v_fmac_f32_e32 v26, 0x3f737871, v4
	v_fmac_f32_e32 v9, 0xbf737871, v4
	;; [unrolled: 1-line block ×4, first 2 shown]
	v_add_f32_e32 v0, v10, v2
	v_add_f32_e32 v24, v24, v5
	;; [unrolled: 1-line block ×6, first 2 shown]
	v_sub_f32_e32 v1, v5, v1
	v_sub_f32_e32 v5, v13, v17
	v_add_f32_e32 v17, v0, v18
	v_add_f32_e32 v0, v6, v14
	;; [unrolled: 1-line block ×3, first 2 shown]
	v_fma_f32 v0, -0.5, v0, v10
	v_fmac_f32_e32 v26, 0x3e9e377a, v1
	v_fmac_f32_e32 v9, 0x3e9e377a, v1
	v_sub_f32_e32 v1, v3, v19
	v_mov_b32_e32 v4, v0
	v_fmac_f32_e32 v4, 0x3f737871, v1
	v_sub_f32_e32 v5, v7, v15
	v_sub_f32_e32 v12, v2, v6
	;; [unrolled: 1-line block ×3, first 2 shown]
	v_fmac_f32_e32 v0, 0xbf737871, v1
	v_fmac_f32_e32 v4, 0x3f167918, v5
	v_add_f32_e32 v12, v12, v13
	v_fmac_f32_e32 v0, 0xbf167918, v5
	v_fmac_f32_e32 v4, 0x3e9e377a, v12
	;; [unrolled: 1-line block ×3, first 2 shown]
	v_add_f32_e32 v12, v2, v18
	v_fmac_f32_e32 v10, -0.5, v12
	v_mov_b32_e32 v12, v10
	v_fmac_f32_e32 v12, 0xbf737871, v5
	v_fmac_f32_e32 v10, 0x3f737871, v5
	;; [unrolled: 1-line block ×4, first 2 shown]
	v_add_f32_e32 v1, v11, v3
	v_add_f32_e32 v1, v1, v7
	v_sub_f32_e32 v13, v6, v2
	v_sub_f32_e32 v27, v14, v18
	v_add_f32_e32 v1, v1, v15
	v_add_f32_e32 v13, v13, v27
	;; [unrolled: 1-line block ×4, first 2 shown]
	v_fma_f32 v1, -0.5, v1, v11
	v_sub_f32_e32 v2, v2, v18
	v_mov_b32_e32 v5, v1
	v_fmac_f32_e32 v12, 0x3e9e377a, v13
	v_fmac_f32_e32 v10, 0x3e9e377a, v13
	;; [unrolled: 1-line block ×3, first 2 shown]
	v_sub_f32_e32 v6, v6, v14
	v_sub_f32_e32 v13, v3, v7
	;; [unrolled: 1-line block ×3, first 2 shown]
	v_fmac_f32_e32 v1, 0x3f737871, v2
	v_fmac_f32_e32 v5, 0xbf167918, v6
	v_add_f32_e32 v13, v13, v14
	v_fmac_f32_e32 v1, 0x3f167918, v6
	v_fmac_f32_e32 v5, 0x3e9e377a, v13
	;; [unrolled: 1-line block ×3, first 2 shown]
	v_add_f32_e32 v13, v3, v19
	v_fmac_f32_e32 v11, -0.5, v13
	v_mov_b32_e32 v13, v11
	v_sub_f32_e32 v3, v7, v3
	v_sub_f32_e32 v7, v15, v19
	v_fmac_f32_e32 v11, 0xbf737871, v6
	v_fmac_f32_e32 v13, 0x3f737871, v6
	v_add_f32_e32 v3, v3, v7
	v_fmac_f32_e32 v11, 0x3f167918, v2
	v_fmac_f32_e32 v13, 0xbf167918, v2
	;; [unrolled: 1-line block ×3, first 2 shown]
	v_mul_f32_e32 v2, 0x3e9e377a, v10
	v_fmac_f32_e32 v13, 0x3e9e377a, v3
	v_fma_f32 v18, v11, s4, -v2
	v_mul_f32_e32 v2, 0x3f4f1bbd, v0
	v_add_f32_e32 v41, v44, v51
	v_add_f32_e32 v31, v48, v28
	v_sub_f32_e32 v51, v44, v51
	v_sub_f32_e32 v44, v48, v28
	v_mul_f32_e32 v14, 0x3f4f1bbd, v4
	v_mul_f32_e32 v15, 0x3f737871, v13
	v_fma_f32 v19, v1, s5, -v2
	v_mul_f32_e32 v28, 0xbf167918, v4
	v_mul_f32_e32 v29, 0xbf737871, v12
	;; [unrolled: 1-line block ×4, first 2 shown]
	v_fmac_f32_e32 v54, 0x3e9e377a, v38
	v_fmac_f32_e32 v14, 0x3f167918, v5
	;; [unrolled: 1-line block ×5, first 2 shown]
	v_fma_f32 v10, v10, s12, -v2
	v_fma_f32 v11, v0, s13, -v1
	v_mul_lo_u16_e32 v38, 10, v130
	v_sub_f32_e32 v12, v20, v17
	v_sub_f32_e32 v0, v21, v14
	;; [unrolled: 1-line block ×10, first 2 shown]
	v_lshl_add_u32 v137, v38, 3, v131
	v_mul_u32_u24_e32 v133, 10, v58
	v_add_f32_e32 v35, v53, v54
	v_sub_f32_e32 v48, v53, v54
	s_barrier
	ds_write_b128 v137, v[30:33]
	ds_write_b128 v137, v[34:37] offset:16
	ds_write_b128 v137, v[41:44] offset:32
	;; [unrolled: 1-line block ×4, first 2 shown]
	s_and_saveexec_b64 s[4:5], s[0:1]
	s_cbranch_execz .LBB0_7
; %bb.6:
	v_add_f32_e32 v11, v25, v11
	v_add_f32_e32 v29, v26, v29
	;; [unrolled: 1-line block ×8, first 2 shown]
	v_lshl_add_u32 v8, v133, 3, v131
	v_add_f32_e32 v31, v9, v10
	v_add_f32_e32 v10, v22, v19
	ds_write_b128 v8, v[23:26]
	ds_write_b128 v8, v[28:31] offset:16
	ds_write_b128 v8, v[10:13] offset:32
	;; [unrolled: 1-line block ×4, first 2 shown]
.LBB0_7:
	s_or_b64 exec, exec, s[4:5]
	s_movk_i32 s4, 0xcd
	v_mul_lo_u16_sdwa v8, v58, s4 dst_sel:DWORD dst_unused:UNUSED_PAD src0_sel:BYTE_0 src1_sel:DWORD
	v_lshrrev_b16_e32 v57, 11, v8
	v_mul_lo_u16_e32 v8, 10, v57
	v_sub_u16_e32 v61, v58, v8
	v_mov_b32_e32 v18, 5
	v_lshlrev_b32_sdwa v19, v18, v61 dst_sel:DWORD dst_unused:UNUSED_PAD src0_sel:DWORD src1_sel:BYTE_0
	v_add_co_u32_e32 v62, vcc, 60, v130
	s_waitcnt lgkmcnt(0)
	s_barrier
	global_load_dwordx4 v[8:11], v19, s[2:3] offset:16
	global_load_dwordx4 v[14:17], v19, s[2:3]
	v_mul_lo_u16_sdwa v19, v62, s4 dst_sel:DWORD dst_unused:UNUSED_PAD src0_sel:BYTE_0 src1_sel:DWORD
	v_lshrrev_b16_e32 v71, 11, v19
	v_mul_lo_u16_e32 v19, 10, v71
	v_sub_u16_e32 v72, v62, v19
	v_lshlrev_b32_sdwa v26, v18, v72 dst_sel:DWORD dst_unused:UNUSED_PAD src0_sel:DWORD src1_sel:BYTE_0
	global_load_dwordx4 v[22:25], v26, s[2:3]
	global_load_dwordx4 v[18:21], v26, s[2:3] offset:16
	v_mul_lo_u16_sdwa v26, v130, s4 dst_sel:DWORD dst_unused:UNUSED_PAD src0_sel:BYTE_0 src1_sel:DWORD
	v_lshrrev_b16_e32 v73, 11, v26
	v_mul_lo_u16_e32 v26, 10, v73
	v_sub_u16_e32 v74, v130, v26
	v_lshlrev_b16_e32 v26, 2, v74
	v_and_b32_e32 v26, 0xfc, v26
	v_lshlrev_b32_e32 v34, 3, v26
	global_load_dwordx4 v[30:33], v34, s[2:3]
	global_load_dwordx4 v[26:29], v34, s[2:3] offset:16
	ds_read2_b64 v[34:37], v129 offset1:30
	ds_read2_b64 v[41:44], v129 offset0:60 offset1:90
	ds_read2_b64 v[45:48], v129 offset0:180 offset1:210
	v_add_u32_e32 v82, 0x400, v129
	v_add_u32_e32 v102, 0x800, v129
	ds_read2_b64 v[49:52], v129 offset0:120 offset1:150
	ds_read_b64 v[38:39], v129 offset:3360
	ds_read2_b64 v[53:56], v82 offset0:112 offset1:142
	ds_read2_b64 v[63:66], v102 offset0:104 offset1:134
	;; [unrolled: 1-line block ×3, first 2 shown]
	s_waitcnt vmcnt(0) lgkmcnt(0)
	s_barrier
	s_movk_i32 s4, 0xffec
	v_lshlrev_b32_e32 v62, 4, v62
	v_mul_f32_e32 v78, v67, v9
	v_mul_f32_e32 v75, v48, v17
	;; [unrolled: 1-line block ×5, first 2 shown]
	v_fma_f32 v75, v47, v16, -v75
	v_mul_f32_e32 v84, v54, v25
	v_mul_f32_e32 v87, v69, v19
	;; [unrolled: 1-line block ×5, first 2 shown]
	v_fmac_f32_e32 v87, v70, v18
	v_fma_f32 v70, v38, v20, -v88
	v_mul_f32_e32 v81, v52, v23
	v_mul_f32_e32 v38, v44, v31
	;; [unrolled: 1-line block ×3, first 2 shown]
	v_fmac_f32_e32 v78, v68, v8
	v_fma_f32 v68, v53, v24, -v84
	v_fmac_f32_e32 v89, v39, v20
	v_mul_f32_e32 v39, v46, v33
	v_mul_f32_e32 v47, v56, v27
	v_fma_f32 v53, v43, v30, -v38
	v_mul_f32_e32 v59, v50, v15
	v_mul_f32_e32 v60, v49, v15
	;; [unrolled: 1-line block ×4, first 2 shown]
	v_fmac_f32_e32 v80, v66, v10
	v_fma_f32 v66, v51, v22, -v81
	v_fmac_f32_e32 v85, v54, v24
	v_mul_f32_e32 v51, v55, v27
	v_fma_f32 v54, v45, v32, -v39
	v_fma_f32 v55, v55, v26, -v47
	v_add_f32_e32 v38, v34, v53
	v_fma_f32 v59, v49, v14, -v59
	v_fmac_f32_e32 v60, v50, v14
	v_fmac_f32_e32 v76, v48, v16
	;; [unrolled: 1-line block ×3, first 2 shown]
	v_mul_f32_e32 v49, v43, v31
	v_mul_f32_e32 v50, v45, v33
	;; [unrolled: 1-line block ×4, first 2 shown]
	v_add_f32_e32 v39, v54, v55
	v_add_f32_e32 v43, v38, v54
	v_fmac_f32_e32 v49, v44, v30
	v_fmac_f32_e32 v50, v46, v32
	v_fma_f32 v46, v63, v28, -v48
	v_fmac_f32_e32 v52, v64, v28
	v_fma_f32 v38, -0.5, v39, v34
	v_add_f32_e32 v39, v43, v55
	v_fmac_f32_e32 v51, v56, v26
	v_add_f32_e32 v43, v39, v46
	v_sub_f32_e32 v39, v49, v52
	v_mov_b32_e32 v45, v38
	v_fmac_f32_e32 v45, 0x3f737871, v39
	v_sub_f32_e32 v44, v50, v51
	v_sub_f32_e32 v47, v53, v54
	;; [unrolled: 1-line block ×3, first 2 shown]
	v_fmac_f32_e32 v38, 0xbf737871, v39
	v_fmac_f32_e32 v45, 0x3f167918, v44
	v_add_f32_e32 v47, v47, v48
	v_fmac_f32_e32 v38, 0xbf167918, v44
	v_fmac_f32_e32 v45, 0x3e9e377a, v47
	;; [unrolled: 1-line block ×3, first 2 shown]
	v_add_f32_e32 v47, v53, v46
	v_fma_f32 v34, -0.5, v47, v34
	v_mov_b32_e32 v47, v34
	v_fmac_f32_e32 v47, 0xbf737871, v44
	v_fmac_f32_e32 v34, 0x3f737871, v44
	v_fmac_f32_e32 v47, 0x3f167918, v39
	v_fmac_f32_e32 v34, 0xbf167918, v39
	v_add_f32_e32 v39, v35, v49
	v_add_f32_e32 v39, v39, v50
	;; [unrolled: 1-line block ×5, first 2 shown]
	v_sub_f32_e32 v48, v54, v53
	v_sub_f32_e32 v56, v55, v46
	v_fma_f32 v39, -0.5, v39, v35
	v_add_f32_e32 v48, v48, v56
	v_sub_f32_e32 v53, v53, v46
	v_mov_b32_e32 v46, v39
	v_fmac_f32_e32 v47, 0x3e9e377a, v48
	v_fmac_f32_e32 v34, 0x3e9e377a, v48
	;; [unrolled: 1-line block ×3, first 2 shown]
	v_sub_f32_e32 v54, v54, v55
	v_sub_f32_e32 v48, v49, v50
	;; [unrolled: 1-line block ×3, first 2 shown]
	v_fmac_f32_e32 v39, 0x3f737871, v53
	v_fmac_f32_e32 v46, 0xbf167918, v54
	v_add_f32_e32 v48, v48, v55
	v_fmac_f32_e32 v39, 0x3f167918, v54
	v_fmac_f32_e32 v46, 0x3e9e377a, v48
	;; [unrolled: 1-line block ×3, first 2 shown]
	v_add_f32_e32 v48, v49, v52
	v_fma_f32 v67, v67, v8, -v77
	v_fma_f32 v35, -0.5, v48, v35
	v_sub_f32_e32 v49, v50, v49
	v_sub_f32_e32 v50, v51, v52
	v_mov_b32_e32 v48, v35
	v_add_f32_e32 v49, v49, v50
	v_add_f32_e32 v50, v75, v67
	v_fmac_f32_e32 v48, 0x3f737871, v54
	v_fmac_f32_e32 v35, 0xbf737871, v54
	v_fma_f32 v51, -0.5, v50, v36
	v_fma_f32 v65, v65, v10, -v79
	v_fmac_f32_e32 v48, 0xbf167918, v53
	v_fmac_f32_e32 v35, 0x3f167918, v53
	v_sub_f32_e32 v50, v60, v80
	v_mov_b32_e32 v53, v51
	v_fmac_f32_e32 v53, 0x3f737871, v50
	v_sub_f32_e32 v52, v76, v78
	v_sub_f32_e32 v54, v59, v75
	;; [unrolled: 1-line block ×3, first 2 shown]
	v_fmac_f32_e32 v51, 0xbf737871, v50
	v_fmac_f32_e32 v53, 0x3f167918, v52
	v_add_f32_e32 v54, v54, v55
	v_fmac_f32_e32 v51, 0xbf167918, v52
	v_fmac_f32_e32 v53, 0x3e9e377a, v54
	;; [unrolled: 1-line block ×3, first 2 shown]
	v_add_f32_e32 v54, v59, v65
	v_fmac_f32_e32 v48, 0x3e9e377a, v49
	v_fmac_f32_e32 v35, 0x3e9e377a, v49
	v_add_f32_e32 v49, v36, v59
	v_fma_f32 v36, -0.5, v54, v36
	v_mov_b32_e32 v55, v36
	v_fmac_f32_e32 v55, 0xbf737871, v52
	v_sub_f32_e32 v54, v75, v59
	v_sub_f32_e32 v56, v67, v65
	v_fmac_f32_e32 v36, 0x3f737871, v52
	v_add_f32_e32 v52, v76, v78
	v_fmac_f32_e32 v55, 0x3f167918, v50
	v_add_f32_e32 v54, v54, v56
	v_fmac_f32_e32 v36, 0xbf167918, v50
	v_fma_f32 v52, -0.5, v52, v37
	v_fmac_f32_e32 v55, 0x3e9e377a, v54
	v_fmac_f32_e32 v36, 0x3e9e377a, v54
	v_sub_f32_e32 v59, v59, v65
	v_mov_b32_e32 v54, v52
	v_fmac_f32_e32 v54, 0xbf737871, v59
	v_sub_f32_e32 v63, v75, v67
	v_sub_f32_e32 v56, v60, v76
	;; [unrolled: 1-line block ×3, first 2 shown]
	v_fmac_f32_e32 v52, 0x3f737871, v59
	v_fmac_f32_e32 v54, 0xbf167918, v63
	v_add_f32_e32 v56, v56, v64
	v_fmac_f32_e32 v52, 0x3f167918, v63
	v_fmac_f32_e32 v54, 0x3e9e377a, v56
	;; [unrolled: 1-line block ×3, first 2 shown]
	v_add_f32_e32 v56, v60, v80
	v_add_f32_e32 v50, v37, v60
	v_fmac_f32_e32 v37, -0.5, v56
	v_mov_b32_e32 v56, v37
	v_fmac_f32_e32 v56, 0x3f737871, v63
	v_sub_f32_e32 v60, v76, v60
	v_sub_f32_e32 v64, v78, v80
	v_fmac_f32_e32 v37, 0xbf737871, v63
	v_fma_f32 v69, v69, v18, -v86
	v_fmac_f32_e32 v56, 0xbf167918, v59
	v_add_f32_e32 v60, v60, v64
	v_fmac_f32_e32 v37, 0x3f167918, v59
	v_add_f32_e32 v49, v49, v75
	v_fmac_f32_e32 v56, 0x3e9e377a, v60
	v_fmac_f32_e32 v37, 0x3e9e377a, v60
	v_add_f32_e32 v60, v68, v69
	v_add_f32_e32 v49, v49, v67
	v_fma_f32 v63, -0.5, v60, v41
	v_add_f32_e32 v49, v49, v65
	v_sub_f32_e32 v60, v83, v89
	v_mov_b32_e32 v65, v63
	v_fmac_f32_e32 v65, 0x3f737871, v60
	v_sub_f32_e32 v64, v85, v87
	v_sub_f32_e32 v67, v66, v68
	;; [unrolled: 1-line block ×3, first 2 shown]
	v_fmac_f32_e32 v63, 0xbf737871, v60
	v_fmac_f32_e32 v65, 0x3f167918, v64
	v_add_f32_e32 v67, v67, v75
	v_fmac_f32_e32 v63, 0xbf167918, v64
	v_fmac_f32_e32 v65, 0x3e9e377a, v67
	;; [unrolled: 1-line block ×3, first 2 shown]
	v_add_f32_e32 v67, v66, v70
	v_add_f32_e32 v59, v41, v66
	v_fma_f32 v41, -0.5, v67, v41
	v_mov_b32_e32 v67, v41
	v_add_f32_e32 v59, v59, v68
	v_fmac_f32_e32 v67, 0xbf737871, v64
	v_fmac_f32_e32 v41, 0x3f737871, v64
	v_add_f32_e32 v64, v85, v87
	v_add_f32_e32 v50, v50, v76
	;; [unrolled: 1-line block ×3, first 2 shown]
	v_sub_f32_e32 v75, v68, v66
	v_sub_f32_e32 v76, v69, v70
	v_fma_f32 v64, -0.5, v64, v42
	v_add_f32_e32 v59, v59, v70
	v_fmac_f32_e32 v67, 0x3f167918, v60
	v_add_f32_e32 v75, v75, v76
	v_fmac_f32_e32 v41, 0xbf167918, v60
	v_sub_f32_e32 v70, v66, v70
	v_mov_b32_e32 v66, v64
	v_fmac_f32_e32 v67, 0x3e9e377a, v75
	v_fmac_f32_e32 v41, 0x3e9e377a, v75
	;; [unrolled: 1-line block ×3, first 2 shown]
	v_sub_f32_e32 v69, v68, v69
	v_sub_f32_e32 v68, v83, v85
	;; [unrolled: 1-line block ×3, first 2 shown]
	v_fmac_f32_e32 v64, 0x3f737871, v70
	v_fmac_f32_e32 v66, 0xbf167918, v69
	v_add_f32_e32 v68, v68, v75
	v_fmac_f32_e32 v64, 0x3f167918, v69
	v_fmac_f32_e32 v66, 0x3e9e377a, v68
	;; [unrolled: 1-line block ×3, first 2 shown]
	v_add_f32_e32 v68, v83, v89
	v_add_f32_e32 v60, v42, v83
	v_fmac_f32_e32 v42, -0.5, v68
	v_mov_b32_e32 v68, v42
	v_fmac_f32_e32 v68, 0x3f737871, v69
	v_fmac_f32_e32 v42, 0xbf737871, v69
	v_mad_legacy_u16 v69, v73, 50, v74
	v_and_b32_e32 v69, 0xff, v69
	v_lshl_add_u32 v134, v69, 3, v131
	ds_write2_b64 v134, v[43:44], v[45:46] offset1:10
	ds_write2_b64 v134, v[47:48], v[34:35] offset0:20 offset1:30
	ds_write_b64 v134, v[38:39] offset:320
	v_mul_u32_u24_e32 v34, 50, v57
	v_add_u32_sdwa v34, v34, v61 dst_sel:DWORD dst_unused:UNUSED_PAD src0_sel:DWORD src1_sel:BYTE_0
	v_add_f32_e32 v60, v60, v85
	v_lshl_add_u32 v135, v34, 3, v131
	v_mul_u32_u24_e32 v34, 50, v71
	v_add_f32_e32 v50, v50, v78
	v_add_f32_e32 v60, v60, v87
	v_sub_f32_e32 v75, v85, v83
	v_sub_f32_e32 v76, v87, v89
	v_add_u32_sdwa v34, v34, v72 dst_sel:DWORD dst_unused:UNUSED_PAD src0_sel:DWORD src1_sel:BYTE_0
	v_add_co_u32_e32 v38, vcc, s4, v130
	v_add_f32_e32 v50, v50, v80
	v_add_f32_e32 v60, v60, v89
	v_fmac_f32_e32 v68, 0xbf167918, v70
	v_add_f32_e32 v75, v75, v76
	v_fmac_f32_e32 v42, 0x3f167918, v70
	v_lshl_add_u32 v136, v34, 3, v131
	v_addc_co_u32_e64 v39, s[4:5], 0, -1, vcc
	v_cmp_gt_u16_e32 vcc, 20, v130
	v_fmac_f32_e32 v68, 0x3e9e377a, v75
	v_fmac_f32_e32 v42, 0x3e9e377a, v75
	ds_write2_b64 v135, v[49:50], v[53:54] offset1:10
	ds_write2_b64 v135, v[55:56], v[36:37] offset0:20 offset1:30
	ds_write_b64 v135, v[51:52] offset:320
	ds_write2_b64 v136, v[59:60], v[65:66] offset1:10
	ds_write2_b64 v136, v[67:68], v[41:42] offset0:20 offset1:30
	ds_write_b64 v136, v[63:64] offset:320
	v_cndmask_b32_e32 v60, v39, v40, vcc
	v_cndmask_b32_e32 v59, v38, v58, vcc
	v_lshlrev_b64 v[38:39], 4, v[59:60]
	v_lshlrev_b32_e32 v81, 4, v130
	v_mov_b32_e32 v40, s3
	v_add_co_u32_e32 v38, vcc, s2, v38
	s_waitcnt lgkmcnt(0)
	s_barrier
	global_load_dwordx4 v[34:37], v81, s[2:3] offset:320
	global_load_dwordx4 v[42:45], v81, s[2:3] offset:480
	v_addc_co_u32_e32 v39, vcc, v40, v39, vcc
	v_add_co_u32_e32 v91, vcc, 0x5a, v130
	s_movk_i32 s4, 0x78
	v_mov_b32_e32 v50, 41
	v_mul_lo_u16_sdwa v46, v91, v50 dst_sel:DWORD dst_unused:UNUSED_PAD src0_sel:BYTE_0 src1_sel:DWORD
	v_add_co_u32_e32 v94, vcc, s4, v130
	global_load_dwordx4 v[38:41], v[38:39], off offset:320
	v_lshrrev_b16_e32 v92, 11, v46
	v_mul_lo_u16_sdwa v50, v94, v50 dst_sel:DWORD dst_unused:UNUSED_PAD src0_sel:BYTE_0 src1_sel:DWORD
	v_mul_lo_u16_e32 v46, 50, v92
	v_lshrrev_b16_e32 v50, 11, v50
	v_sub_u16_e32 v93, v91, v46
	v_mov_b32_e32 v46, 4
	v_mul_lo_u16_e32 v50, 50, v50
	v_lshlrev_b32_sdwa v46, v46, v93 dst_sel:DWORD dst_unused:UNUSED_PAD src0_sel:DWORD src1_sel:BYTE_0
	v_sub_u16_e32 v50, v94, v50
	global_load_dwordx4 v[46:49], v46, s[2:3] offset:320
	v_and_b32_e32 v95, 0xff, v50
	v_lshlrev_b32_e32 v50, 4, v95
	global_load_dwordx4 v[50:53], v50, s[2:3] offset:320
	ds_read2_b64 v[54:57], v129 offset1:30
	ds_read2_b64 v[63:66], v129 offset0:120 offset1:150
	ds_read2_b64 v[67:70], v102 offset0:44 offset1:74
	ds_read2_b64 v[71:74], v129 offset0:180 offset1:210
	ds_read2_b64 v[75:78], v129 offset0:60 offset1:90
	ds_read2_b64 v[83:86], v102 offset0:104 offset1:134
	ds_read2_b64 v[87:90], v82 offset0:112 offset1:142
	ds_read_b64 v[60:61], v129 offset:3360
	s_waitcnt vmcnt(0) lgkmcnt(0)
	s_barrier
	v_cmp_lt_u16_e32 vcc, 19, v130
	v_lshl_add_u32 v140, v95, 3, v131
	v_lshlrev_b32_e32 v58, 4, v58
	s_add_u32 s4, s14, 0xe10
	s_addc_u32 s5, s15, 0
	v_mul_f32_e32 v79, v66, v35
	v_fma_f32 v79, v65, v34, -v79
	v_mul_f32_e32 v80, v65, v35
	v_mul_f32_e32 v65, v68, v37
	v_fmac_f32_e32 v80, v66, v34
	v_fma_f32 v66, v67, v36, -v65
	v_mul_f32_e32 v99, v73, v43
	v_fmac_f32_e32 v99, v74, v42
	v_mul_f32_e32 v67, v67, v37
	v_fmac_f32_e32 v67, v68, v36
	v_mul_f32_e32 v65, v72, v39
	v_fma_f32 v96, v71, v38, -v65
	v_mul_f32_e32 v71, v71, v39
	v_mul_f32_e32 v65, v70, v41
	v_fmac_f32_e32 v71, v72, v38
	v_fma_f32 v72, v69, v40, -v65
	v_mul_f32_e32 v65, v74, v43
	v_fma_f32 v98, v73, v42, -v65
	v_mul_f32_e32 v65, v84, v45
	;; [unrolled: 2-line block ×3, first 2 shown]
	v_mul_f32_e32 v65, v88, v47
	v_fmac_f32_e32 v74, v84, v44
	v_fma_f32 v84, v87, v46, -v65
	v_mul_f32_e32 v87, v87, v47
	v_mul_f32_e32 v65, v86, v49
	v_fmac_f32_e32 v87, v88, v46
	v_fma_f32 v88, v85, v48, -v65
	v_mul_f32_e32 v65, v90, v51
	v_mul_f32_e32 v103, v60, v53
	v_fma_f32 v101, v89, v50, -v65
	v_mul_f32_e32 v89, v89, v51
	v_mul_f32_e32 v65, v61, v53
	v_fmac_f32_e32 v103, v61, v52
	v_add_f32_e32 v61, v79, v66
	v_fmac_f32_e32 v89, v90, v50
	v_fma_f32 v90, v60, v52, -v65
	v_add_f32_e32 v60, v54, v79
	v_fma_f32 v54, -0.5, v61, v54
	v_sub_f32_e32 v61, v80, v67
	v_mov_b32_e32 v65, v54
	v_fmac_f32_e32 v65, 0x3f5db3d7, v61
	v_fmac_f32_e32 v54, 0xbf5db3d7, v61
	v_add_f32_e32 v61, v55, v80
	v_add_f32_e32 v61, v61, v67
	;; [unrolled: 1-line block ×3, first 2 shown]
	v_fma_f32 v55, -0.5, v67, v55
	v_mul_f32_e32 v97, v69, v41
	v_add_f32_e32 v60, v60, v66
	v_sub_f32_e32 v67, v79, v66
	v_mov_b32_e32 v66, v55
	v_add_f32_e32 v68, v96, v72
	v_fmac_f32_e32 v97, v70, v40
	v_fmac_f32_e32 v66, 0xbf5db3d7, v67
	;; [unrolled: 1-line block ×3, first 2 shown]
	v_add_f32_e32 v67, v56, v96
	v_fma_f32 v56, -0.5, v68, v56
	v_sub_f32_e32 v68, v71, v97
	v_mov_b32_e32 v69, v56
	v_add_f32_e32 v70, v71, v97
	v_add_f32_e32 v67, v67, v72
	v_fmac_f32_e32 v69, 0x3f5db3d7, v68
	v_fmac_f32_e32 v56, 0xbf5db3d7, v68
	v_add_f32_e32 v68, v57, v71
	v_fmac_f32_e32 v57, -0.5, v70
	v_sub_f32_e32 v71, v96, v72
	v_add_f32_e32 v72, v98, v100
	v_mov_b32_e32 v70, v57
	v_fma_f32 v73, -0.5, v72, v75
	v_fmac_f32_e32 v70, 0xbf5db3d7, v71
	v_fmac_f32_e32 v57, 0x3f5db3d7, v71
	v_add_f32_e32 v71, v75, v98
	v_sub_f32_e32 v72, v99, v74
	v_mov_b32_e32 v75, v73
	v_fmac_f32_e32 v75, 0x3f5db3d7, v72
	v_fmac_f32_e32 v73, 0xbf5db3d7, v72
	v_add_f32_e32 v72, v76, v99
	v_add_f32_e32 v72, v72, v74
	;; [unrolled: 1-line block ×3, first 2 shown]
	v_fma_f32 v74, -0.5, v74, v76
	v_mul_f32_e32 v85, v85, v49
	v_sub_f32_e32 v79, v98, v100
	v_mov_b32_e32 v76, v74
	v_add_f32_e32 v80, v84, v88
	v_fmac_f32_e32 v85, v86, v48
	v_fmac_f32_e32 v76, 0xbf5db3d7, v79
	v_fmac_f32_e32 v74, 0x3f5db3d7, v79
	v_add_f32_e32 v79, v77, v84
	v_fma_f32 v77, -0.5, v80, v77
	v_sub_f32_e32 v80, v87, v85
	v_mov_b32_e32 v83, v77
	v_fmac_f32_e32 v83, 0x3f5db3d7, v80
	v_fmac_f32_e32 v77, 0xbf5db3d7, v80
	v_add_f32_e32 v80, v78, v87
	v_add_f32_e32 v80, v80, v85
	v_add_f32_e32 v85, v87, v85
	v_fmac_f32_e32 v78, -0.5, v85
	v_sub_f32_e32 v85, v84, v88
	v_mov_b32_e32 v84, v78
	v_add_f32_e32 v86, v101, v90
	ds_write2_b64 v129, v[60:61], v[65:66] offset1:50
	ds_write_b64 v129, v[54:55] offset:800
	v_mov_b32_e32 v54, 0x96
	v_fmac_f32_e32 v84, 0xbf5db3d7, v85
	v_fmac_f32_e32 v78, 0x3f5db3d7, v85
	v_add_f32_e32 v85, v63, v101
	v_fma_f32 v63, -0.5, v86, v63
	v_cndmask_b32_e32 v54, 0, v54, vcc
	v_add_f32_e32 v79, v79, v88
	v_sub_f32_e32 v86, v89, v103
	v_mov_b32_e32 v87, v63
	v_add_f32_e32 v88, v89, v103
	v_add_u32_e32 v54, v59, v54
	v_fmac_f32_e32 v87, 0x3f5db3d7, v86
	v_fmac_f32_e32 v63, 0xbf5db3d7, v86
	v_add_f32_e32 v86, v64, v89
	v_fmac_f32_e32 v64, -0.5, v88
	v_lshl_add_u32 v138, v54, 3, v131
	v_mul_u32_u24_e32 v54, 0x96, v92
	v_sub_f32_e32 v89, v101, v90
	v_mov_b32_e32 v88, v64
	v_add_u32_sdwa v54, v54, v93 dst_sel:DWORD dst_unused:UNUSED_PAD src0_sel:DWORD src1_sel:BYTE_0
	v_add_f32_e32 v68, v68, v97
	v_add_f32_e32 v85, v85, v90
	;; [unrolled: 1-line block ×3, first 2 shown]
	v_fmac_f32_e32 v88, 0xbf5db3d7, v89
	v_lshl_add_u32 v139, v54, 3, v131
	v_add_u32_e32 v54, 0x800, v140
	v_add_f32_e32 v71, v71, v100
	v_fmac_f32_e32 v64, 0x3f5db3d7, v89
	ds_write2_b64 v138, v[67:68], v[69:70] offset1:50
	ds_write_b64 v138, v[56:57] offset:800
	ds_write2_b64 v129, v[71:72], v[75:76] offset0:160 offset1:210
	ds_write_b64 v129, v[73:74] offset:2080
	ds_write2_b64 v139, v[79:80], v[83:84] offset1:50
	ds_write_b64 v139, v[77:78] offset:800
	ds_write2_b64 v54, v[85:86], v[87:88] offset0:44 offset1:94
	ds_write_b64 v140, v[63:64] offset:3200
	s_waitcnt lgkmcnt(0)
	s_barrier
	global_load_dwordx4 v[54:57], v81, s[2:3] offset:1120
	v_lshlrev_b32_e32 v66, 4, v91
	global_load_dwordx4 v[58:61], v58, s[2:3] offset:1120
	v_lshlrev_b32_e32 v70, 4, v94
	global_load_dwordx4 v[62:65], v62, s[2:3] offset:1120
	s_nop 0
	global_load_dwordx4 v[66:69], v66, s[2:3] offset:1120
	s_nop 0
	global_load_dwordx4 v[70:73], v70, s[2:3] offset:1120
	ds_read2_b64 v[84:87], v129 offset1:30
	ds_read2_b64 v[78:81], v129 offset0:120 offset1:150
	ds_read2_b64 v[88:91], v102 offset0:44 offset1:74
	;; [unrolled: 1-line block ×6, first 2 shown]
	ds_read_b64 v[82:83], v129 offset:3360
	s_waitcnt vmcnt(4) lgkmcnt(6)
	v_mul_f32_e32 v100, v81, v55
	v_fma_f32 v100, v80, v54, -v100
	v_mul_f32_e32 v101, v80, v55
	s_waitcnt lgkmcnt(5)
	v_mul_f32_e32 v80, v89, v57
	v_fmac_f32_e32 v101, v81, v54
	v_fma_f32 v81, v88, v56, -v80
	s_waitcnt vmcnt(3) lgkmcnt(4)
	v_mul_f32_e32 v80, v93, v59
	v_fma_f32 v104, v92, v58, -v80
	v_mul_f32_e32 v80, v91, v61
	v_fma_f32 v132, v90, v60, -v80
	s_waitcnt vmcnt(2)
	v_mul_f32_e32 v80, v95, v63
	v_fma_f32 v146, v94, v62, -v80
	s_waitcnt lgkmcnt(2)
	v_mul_f32_e32 v80, v97, v65
	v_fma_f32 v148, v96, v64, -v80
	s_waitcnt vmcnt(1) lgkmcnt(1)
	v_mul_f32_e32 v80, v142, v67
	v_fma_f32 v150, v141, v66, -v80
	v_mul_f32_e32 v141, v141, v67
	v_mul_f32_e32 v80, v99, v69
	v_fmac_f32_e32 v141, v142, v66
	v_fma_f32 v142, v98, v68, -v80
	s_waitcnt vmcnt(0)
	v_mul_f32_e32 v80, v144, v71
	v_fma_f32 v152, v143, v70, -v80
	v_mul_f32_e32 v143, v143, v71
	s_waitcnt lgkmcnt(0)
	v_mul_f32_e32 v80, v83, v73
	v_fmac_f32_e32 v143, v144, v70
	v_fma_f32 v144, v82, v72, -v80
	v_add_f32_e32 v80, v84, v100
	v_mul_f32_e32 v103, v88, v57
	v_add_f32_e32 v88, v80, v81
	v_add_f32_e32 v80, v100, v81
	v_fmac_f32_e32 v103, v89, v56
	v_mul_f32_e32 v145, v90, v61
	v_fma_f32 v90, -0.5, v80, v84
	v_mul_f32_e32 v153, v82, v73
	v_sub_f32_e32 v82, v101, v103
	v_mov_b32_e32 v80, v90
	v_fmac_f32_e32 v80, 0x3f5db3d7, v82
	v_fmac_f32_e32 v90, 0xbf5db3d7, v82
	v_add_f32_e32 v82, v85, v101
	v_add_f32_e32 v89, v82, v103
	v_add_f32_e32 v82, v101, v103
	v_fmac_f32_e32 v145, v91, v60
	v_fma_f32 v91, -0.5, v82, v85
	v_sub_f32_e32 v82, v100, v81
	v_mov_b32_e32 v81, v91
	v_fmac_f32_e32 v81, 0xbf5db3d7, v82
	v_fmac_f32_e32 v91, 0x3f5db3d7, v82
	v_add_f32_e32 v82, v86, v104
	v_mul_f32_e32 v105, v92, v59
	v_add_f32_e32 v92, v82, v132
	v_add_f32_e32 v82, v104, v132
	v_fmac_f32_e32 v105, v93, v58
	v_fma_f32 v86, -0.5, v82, v86
	v_mul_f32_e32 v147, v94, v63
	v_sub_f32_e32 v82, v105, v145
	v_mov_b32_e32 v94, v86
	v_fmac_f32_e32 v94, 0x3f5db3d7, v82
	v_fmac_f32_e32 v86, 0xbf5db3d7, v82
	v_add_f32_e32 v82, v87, v105
	v_add_f32_e32 v93, v82, v145
	;; [unrolled: 1-line block ×3, first 2 shown]
	v_fmac_f32_e32 v87, -0.5, v82
	v_fmac_f32_e32 v147, v95, v62
	v_sub_f32_e32 v82, v104, v132
	v_mov_b32_e32 v95, v87
	v_fmac_f32_e32 v95, 0xbf5db3d7, v82
	v_fmac_f32_e32 v87, 0x3f5db3d7, v82
	v_add_f32_e32 v82, v74, v146
	v_mul_f32_e32 v149, v96, v65
	v_add_f32_e32 v96, v82, v148
	v_add_f32_e32 v82, v146, v148
	v_fmac_f32_e32 v149, v97, v64
	v_mul_f32_e32 v151, v98, v69
	v_fma_f32 v98, -0.5, v82, v74
	v_sub_f32_e32 v74, v147, v149
	v_mov_b32_e32 v100, v98
	v_fmac_f32_e32 v100, 0x3f5db3d7, v74
	v_fmac_f32_e32 v98, 0xbf5db3d7, v74
	v_add_f32_e32 v74, v75, v147
	v_add_f32_e32 v97, v74, v149
	;; [unrolled: 1-line block ×3, first 2 shown]
	v_fmac_f32_e32 v151, v99, v68
	v_fma_f32 v99, -0.5, v74, v75
	v_sub_f32_e32 v74, v146, v148
	v_mov_b32_e32 v101, v99
	v_fmac_f32_e32 v101, 0xbf5db3d7, v74
	v_fmac_f32_e32 v99, 0x3f5db3d7, v74
	v_add_f32_e32 v74, v76, v150
	v_add_f32_e32 v103, v74, v142
	;; [unrolled: 1-line block ×3, first 2 shown]
	v_fma_f32 v76, -0.5, v74, v76
	v_sub_f32_e32 v75, v141, v151
	v_mov_b32_e32 v74, v76
	v_fmac_f32_e32 v74, 0x3f5db3d7, v75
	v_fmac_f32_e32 v76, 0xbf5db3d7, v75
	v_add_f32_e32 v75, v77, v141
	v_add_f32_e32 v104, v75, v151
	;; [unrolled: 1-line block ×3, first 2 shown]
	v_fmac_f32_e32 v77, -0.5, v75
	v_fmac_f32_e32 v153, v83, v72
	v_sub_f32_e32 v82, v150, v142
	v_mov_b32_e32 v75, v77
	v_add_f32_e32 v83, v152, v144
	v_fmac_f32_e32 v75, 0xbf5db3d7, v82
	v_fmac_f32_e32 v77, 0x3f5db3d7, v82
	v_add_f32_e32 v82, v78, v152
	v_fma_f32 v78, -0.5, v83, v78
	v_sub_f32_e32 v83, v143, v153
	v_mov_b32_e32 v84, v78
	v_add_f32_e32 v85, v143, v153
	v_fmac_f32_e32 v84, 0x3f5db3d7, v83
	v_fmac_f32_e32 v78, 0xbf5db3d7, v83
	v_add_f32_e32 v83, v79, v143
	v_fmac_f32_e32 v79, -0.5, v85
	v_lshl_add_u32 v132, v130, 3, v131
	v_sub_f32_e32 v105, v152, v144
	v_mov_b32_e32 v85, v79
	ds_write2_b64 v132, v[80:81], v[94:95] offset0:150 offset1:180
	v_add_u32_e32 v80, 0x800, v132
	v_add_f32_e32 v82, v82, v144
	v_add_f32_e32 v83, v83, v153
	v_fmac_f32_e32 v85, 0xbf5db3d7, v105
	v_fmac_f32_e32 v79, 0x3f5db3d7, v105
	ds_write2_b64 v80, v[90:91], v[86:87] offset0:44 offset1:74
	ds_write2_b64 v132, v[92:93], v[96:97] offset0:30 offset1:60
	ds_write_b64 v132, v[100:101] offset:1680
	ds_write_b64 v132, v[98:99] offset:2880
	ds_write2_b64 v129, v[88:89], v[103:104] offset1:90
	ds_write_b64 v132, v[74:75] offset:1920
	ds_write_b64 v132, v[76:77] offset:3120
	;; [unrolled: 1-line block ×3, first 2 shown]
	ds_write2_b64 v102, v[84:85], v[78:79] offset0:14 offset1:164
	s_waitcnt lgkmcnt(0)
	s_barrier
	global_load_dwordx2 v[90:91], v[106:107], off offset:3600
	v_lshlrev_b32_e32 v81, 3, v130
	global_load_dwordx2 v[94:95], v81, s[4:5] offset:360
	global_load_dwordx2 v[96:97], v81, s[4:5] offset:720
	;; [unrolled: 1-line block ×9, first 2 shown]
	ds_read2_b64 v[86:89], v129 offset1:45
	s_waitcnt vmcnt(9) lgkmcnt(0)
	v_mul_f32_e32 v92, v87, v91
	v_mul_f32_e32 v150, v86, v91
	v_fma_f32 v149, v86, v90, -v92
	v_fmac_f32_e32 v150, v87, v90
	ds_read2_b64 v[90:93], v129 offset0:90 offset1:135
	s_waitcnt vmcnt(8)
	v_mul_f32_e32 v86, v89, v95
	v_mul_f32_e32 v87, v88, v95
	v_fma_f32 v86, v88, v94, -v86
	v_fmac_f32_e32 v87, v89, v94
	ds_write2_b64 v129, v[149:150], v[86:87] offset1:45
	s_waitcnt vmcnt(7) lgkmcnt(1)
	v_mul_f32_e32 v86, v91, v97
	v_fma_f32 v94, v90, v96, -v86
	ds_read2_b64 v[86:89], v129 offset0:180 offset1:225
	v_mul_f32_e32 v95, v90, v97
	v_fmac_f32_e32 v95, v91, v96
	s_waitcnt vmcnt(6)
	v_mul_f32_e32 v90, v93, v99
	v_mul_f32_e32 v91, v92, v99
	v_fma_f32 v90, v92, v98, -v90
	v_fmac_f32_e32 v91, v93, v98
	ds_write2_b64 v129, v[94:95], v[90:91] offset0:90 offset1:135
	s_waitcnt vmcnt(5) lgkmcnt(1)
	v_mul_f32_e32 v90, v87, v101
	v_fma_f32 v94, v86, v100, -v90
	ds_read2_b64 v[90:93], v102 offset0:14 offset1:59
	v_mul_f32_e32 v95, v86, v101
	v_fmac_f32_e32 v95, v87, v100
	s_waitcnt vmcnt(4)
	v_mul_f32_e32 v86, v89, v104
	v_mul_f32_e32 v87, v88, v104
	v_fma_f32 v86, v88, v103, -v86
	v_fmac_f32_e32 v87, v89, v103
	ds_write2_b64 v129, v[94:95], v[86:87] offset0:180 offset1:225
	;; [unrolled: 12-line block ×3, first 2 shown]
	s_waitcnt vmcnt(1) lgkmcnt(1)
	v_mul_f32_e32 v90, v87, v146
	v_mul_f32_e32 v91, v86, v146
	v_fma_f32 v90, v86, v145, -v90
	v_fmac_f32_e32 v91, v87, v145
	s_waitcnt vmcnt(0)
	v_mul_f32_e32 v86, v89, v148
	v_mul_f32_e32 v87, v88, v148
	v_fma_f32 v86, v88, v147, -v86
	v_fmac_f32_e32 v87, v89, v147
	ds_write2_b64 v102, v[90:91], v[86:87] offset0:104 offset1:149
	s_and_saveexec_b64 s[2:3], s[0:1]
	s_cbranch_execz .LBB0_9
; %bb.8:
	v_mov_b32_e32 v87, s5
	v_add_co_u32_e32 v86, vcc, s4, v81
	v_addc_co_u32_e32 v87, vcc, 0, v87, vcc
	global_load_dwordx2 v[103:104], v[86:87], off offset:240
	global_load_dwordx2 v[145:146], v[86:87], off offset:600
	global_load_dwordx2 v[147:148], v[86:87], off offset:960
	global_load_dwordx2 v[149:150], v[86:87], off offset:1320
	global_load_dwordx2 v[151:152], v[86:87], off offset:1680
	global_load_dwordx2 v[153:154], v[86:87], off offset:2040
	global_load_dwordx2 v[155:156], v[86:87], off offset:2400
	global_load_dwordx2 v[157:158], v[86:87], off offset:2760
	global_load_dwordx2 v[159:160], v[86:87], off offset:3120
	global_load_dwordx2 v[161:162], v[86:87], off offset:3480
	ds_read2_b64 v[86:89], v132 offset0:30 offset1:75
	ds_read2_b64 v[90:93], v132 offset0:120 offset1:165
	;; [unrolled: 1-line block ×5, first 2 shown]
	s_waitcnt vmcnt(9) lgkmcnt(4)
	v_mul_f32_e32 v81, v87, v104
	v_mul_f32_e32 v105, v86, v104
	s_waitcnt vmcnt(8)
	v_mul_f32_e32 v164, v89, v146
	v_mul_f32_e32 v163, v88, v146
	s_waitcnt vmcnt(7) lgkmcnt(3)
	v_mul_f32_e32 v165, v91, v148
	v_mul_f32_e32 v146, v90, v148
	s_waitcnt vmcnt(6)
	v_mul_f32_e32 v166, v93, v150
	v_mul_f32_e32 v148, v92, v150
	;; [unrolled: 6-line block ×5, first 2 shown]
	v_fma_f32 v104, v86, v103, -v81
	v_fmac_f32_e32 v105, v87, v103
	v_fma_f32 v162, v88, v145, -v164
	v_fmac_f32_e32 v163, v89, v145
	;; [unrolled: 2-line block ×10, first 2 shown]
	ds_write2_b64 v132, v[104:105], v[162:163] offset0:30 offset1:75
	ds_write2_b64 v132, v[145:146], v[147:148] offset0:120 offset1:165
	;; [unrolled: 1-line block ×5, first 2 shown]
.LBB0_9:
	s_or_b64 exec, exec, s[2:3]
	s_waitcnt lgkmcnt(0)
	s_barrier
	ds_read2_b64 v[86:89], v129 offset1:45
	ds_read2_b64 v[90:93], v129 offset0:90 offset1:135
	ds_read2_b64 v[94:97], v129 offset0:180 offset1:225
	ds_read2_b64 v[98:101], v102 offset0:14 offset1:59
	ds_read2_b64 v[102:105], v102 offset0:104 offset1:149
	s_and_saveexec_b64 s[2:3], s[0:1]
	s_cbranch_execz .LBB0_11
; %bb.10:
	ds_read2_b64 v[74:77], v132 offset0:30 offset1:75
	ds_read2_b64 v[82:85], v132 offset0:120 offset1:165
	;; [unrolled: 1-line block ×3, first 2 shown]
	v_add_u32_e32 v4, 0x800, v132
	ds_read2_b64 v[0:3], v4 offset0:44 offset1:89
	ds_read2_b64 v[4:7], v4 offset0:134 offset1:179
	s_waitcnt lgkmcnt(2)
	v_mov_b32_e32 v12, v80
	v_mov_b32_e32 v13, v81
.LBB0_11:
	s_or_b64 exec, exec, s[2:3]
	s_waitcnt lgkmcnt(1)
	v_add_f32_e32 v141, v94, v98
	v_fma_f32 v141, -0.5, v141, v86
	s_waitcnt lgkmcnt(0)
	v_sub_f32_e32 v142, v91, v103
	v_mov_b32_e32 v143, v141
	v_fmac_f32_e32 v143, 0xbf737871, v142
	v_sub_f32_e32 v144, v95, v99
	v_sub_f32_e32 v145, v90, v94
	;; [unrolled: 1-line block ×3, first 2 shown]
	v_fmac_f32_e32 v141, 0x3f737871, v142
	v_fmac_f32_e32 v143, 0xbf167918, v144
	v_add_f32_e32 v145, v145, v146
	v_fmac_f32_e32 v141, 0x3f167918, v144
	v_fmac_f32_e32 v143, 0x3e9e377a, v145
	;; [unrolled: 1-line block ×3, first 2 shown]
	v_add_f32_e32 v145, v90, v102
	v_fma_f32 v145, -0.5, v145, v86
	v_mov_b32_e32 v146, v145
	v_add_f32_e32 v81, v86, v90
	v_fmac_f32_e32 v146, 0x3f737871, v144
	v_sub_f32_e32 v86, v94, v90
	v_sub_f32_e32 v147, v98, v102
	v_fmac_f32_e32 v145, 0xbf737871, v144
	v_fmac_f32_e32 v146, 0xbf167918, v142
	v_add_f32_e32 v86, v86, v147
	v_fmac_f32_e32 v145, 0x3f167918, v142
	v_fmac_f32_e32 v146, 0x3e9e377a, v86
	;; [unrolled: 1-line block ×3, first 2 shown]
	v_add_f32_e32 v86, v87, v91
	v_add_f32_e32 v86, v86, v95
	;; [unrolled: 1-line block ×5, first 2 shown]
	v_fma_f32 v144, -0.5, v86, v87
	v_add_f32_e32 v81, v81, v94
	v_sub_f32_e32 v86, v90, v102
	v_mov_b32_e32 v147, v144
	v_add_f32_e32 v81, v81, v98
	v_fmac_f32_e32 v147, 0x3f737871, v86
	v_sub_f32_e32 v90, v94, v98
	v_sub_f32_e32 v94, v91, v95
	;; [unrolled: 1-line block ×3, first 2 shown]
	v_fmac_f32_e32 v144, 0xbf737871, v86
	v_fmac_f32_e32 v147, 0x3f167918, v90
	v_add_f32_e32 v94, v94, v98
	v_fmac_f32_e32 v144, 0xbf167918, v90
	v_fmac_f32_e32 v147, 0x3e9e377a, v94
	;; [unrolled: 1-line block ×3, first 2 shown]
	v_add_f32_e32 v94, v91, v103
	v_fma_f32 v148, -0.5, v94, v87
	v_mov_b32_e32 v149, v148
	v_fmac_f32_e32 v149, 0xbf737871, v90
	v_fmac_f32_e32 v148, 0x3f737871, v90
	;; [unrolled: 1-line block ×4, first 2 shown]
	v_add_f32_e32 v86, v88, v92
	v_add_f32_e32 v86, v86, v96
	;; [unrolled: 1-line block ×3, first 2 shown]
	v_sub_f32_e32 v87, v95, v91
	v_sub_f32_e32 v91, v99, v103
	v_add_f32_e32 v98, v86, v104
	v_add_f32_e32 v86, v96, v100
	;; [unrolled: 1-line block ×3, first 2 shown]
	v_fma_f32 v95, -0.5, v86, v88
	v_fmac_f32_e32 v149, 0x3e9e377a, v87
	v_fmac_f32_e32 v148, 0x3e9e377a, v87
	v_sub_f32_e32 v86, v93, v105
	v_mov_b32_e32 v87, v95
	v_fmac_f32_e32 v87, 0xbf737871, v86
	v_sub_f32_e32 v90, v97, v101
	v_sub_f32_e32 v91, v92, v96
	;; [unrolled: 1-line block ×3, first 2 shown]
	v_fmac_f32_e32 v95, 0x3f737871, v86
	v_fmac_f32_e32 v87, 0xbf167918, v90
	v_add_f32_e32 v91, v91, v94
	v_fmac_f32_e32 v95, 0x3f167918, v90
	v_fmac_f32_e32 v87, 0x3e9e377a, v91
	;; [unrolled: 1-line block ×3, first 2 shown]
	v_add_f32_e32 v91, v92, v104
	v_fma_f32 v99, -0.5, v91, v88
	v_add_f32_e32 v81, v81, v102
	v_mov_b32_e32 v102, v99
	v_fmac_f32_e32 v102, 0x3f737871, v90
	v_fmac_f32_e32 v99, 0xbf737871, v90
	v_fmac_f32_e32 v102, 0xbf167918, v86
	v_fmac_f32_e32 v99, 0x3f167918, v86
	v_add_f32_e32 v86, v89, v93
	v_add_f32_e32 v86, v86, v97
	v_add_f32_e32 v86, v86, v101
	v_add_f32_e32 v103, v86, v105
	v_add_f32_e32 v86, v97, v101
	v_sub_f32_e32 v88, v96, v92
	v_sub_f32_e32 v91, v100, v104
	v_fma_f32 v150, -0.5, v86, v89
	v_add_f32_e32 v88, v88, v91
	v_sub_f32_e32 v86, v92, v104
	v_mov_b32_e32 v104, v150
	v_fmac_f32_e32 v102, 0x3e9e377a, v88
	v_fmac_f32_e32 v99, 0x3e9e377a, v88
	;; [unrolled: 1-line block ×3, first 2 shown]
	v_sub_f32_e32 v88, v96, v100
	v_sub_f32_e32 v90, v93, v97
	;; [unrolled: 1-line block ×3, first 2 shown]
	v_fmac_f32_e32 v150, 0xbf737871, v86
	v_fmac_f32_e32 v104, 0x3f167918, v88
	v_add_f32_e32 v90, v90, v91
	v_fmac_f32_e32 v150, 0xbf167918, v88
	v_fmac_f32_e32 v104, 0x3e9e377a, v90
	;; [unrolled: 1-line block ×3, first 2 shown]
	v_add_f32_e32 v90, v93, v105
	v_fmac_f32_e32 v89, -0.5, v90
	v_mov_b32_e32 v96, v89
	v_fmac_f32_e32 v96, 0xbf737871, v88
	v_sub_f32_e32 v90, v97, v93
	v_sub_f32_e32 v91, v101, v105
	v_fmac_f32_e32 v89, 0x3f737871, v88
	v_fmac_f32_e32 v96, 0x3f167918, v86
	v_add_f32_e32 v90, v90, v91
	v_fmac_f32_e32 v89, 0xbf167918, v86
	v_fmac_f32_e32 v96, 0x3e9e377a, v90
	;; [unrolled: 1-line block ×3, first 2 shown]
	v_mul_f32_e32 v97, 0xbf167918, v104
	v_mul_f32_e32 v151, 0x3f167918, v87
	v_fmac_f32_e32 v97, 0x3f4f1bbd, v87
	v_mul_f32_e32 v100, 0xbf737871, v96
	v_mul_f32_e32 v101, 0xbf737871, v89
	v_mul_f32_e32 v105, 0xbf167918, v150
	v_fmac_f32_e32 v151, 0x3f4f1bbd, v104
	v_mul_f32_e32 v152, 0x3e9e377a, v96
	v_mul_f32_e32 v153, 0xbe9e377a, v89
	;; [unrolled: 1-line block ×3, first 2 shown]
	v_add_u32_e32 v80, 0x3c0, v129
	v_add_f32_e32 v90, v81, v98
	v_add_f32_e32 v92, v143, v97
	v_fmac_f32_e32 v100, 0x3e9e377a, v102
	v_fmac_f32_e32 v101, 0xbe9e377a, v99
	;; [unrolled: 1-line block ×3, first 2 shown]
	v_add_f32_e32 v91, v142, v103
	v_add_f32_e32 v93, v147, v151
	v_fmac_f32_e32 v152, 0x3f737871, v102
	v_fmac_f32_e32 v153, 0x3f737871, v99
	;; [unrolled: 1-line block ×3, first 2 shown]
	v_add_f32_e32 v86, v146, v100
	v_add_f32_e32 v88, v145, v101
	;; [unrolled: 1-line block ×6, first 2 shown]
	v_sub_f32_e32 v96, v81, v98
	v_sub_f32_e32 v98, v143, v97
	;; [unrolled: 1-line block ×10, first 2 shown]
	s_barrier
	ds_write_b128 v137, v[90:93]
	ds_write_b128 v137, v[86:89] offset:16
	ds_write_b128 v137, v[94:97] offset:32
	ds_write_b128 v137, v[98:101] offset:48
	ds_write_b128 v137, v[102:105] offset:64
	s_and_saveexec_b64 s[2:3], s[0:1]
	s_cbranch_execz .LBB0_13
; %bb.12:
	v_sub_f32_e32 v81, v83, v79
	v_sub_f32_e32 v86, v5, v1
	v_add_f32_e32 v81, v81, v86
	v_add_f32_e32 v86, v79, v1
	v_fma_f32 v93, -0.5, v86, v75
	v_sub_f32_e32 v86, v84, v12
	v_sub_f32_e32 v88, v6, v2
	v_add_f32_e32 v90, v86, v88
	v_add_f32_e32 v86, v12, v2
	v_fma_f32 v95, -0.5, v86, v76
	;; [unrolled: 5-line block ×6, first 2 shown]
	v_add_f32_e32 v77, v77, v85
	v_sub_f32_e32 v97, v13, v3
	v_add_f32_e32 v13, v77, v13
	v_sub_f32_e32 v100, v84, v6
	v_mov_b32_e32 v101, v99
	v_add_f32_e32 v3, v13, v3
	v_sub_f32_e32 v91, v85, v7
	v_mov_b32_e32 v96, v95
	v_fmac_f32_e32 v101, 0xbf737871, v100
	v_sub_f32_e32 v102, v12, v2
	v_add_f32_e32 v13, v3, v7
	v_sub_f32_e32 v7, v82, v78
	v_sub_f32_e32 v77, v4, v0
	v_fmac_f32_e32 v96, 0x3f737871, v91
	v_fmac_f32_e32 v101, 0xbf167918, v102
	v_mov_b32_e32 v142, v141
	v_fmac_f32_e32 v95, 0xbf737871, v91
	v_add_f32_e32 v75, v75, v83
	v_add_f32_e32 v7, v7, v77
	v_add_f32_e32 v77, v78, v0
	v_fmac_f32_e32 v96, 0x3f167918, v97
	v_fmac_f32_e32 v101, 0x3e9e377a, v98
	;; [unrolled: 1-line block ×5, first 2 shown]
	v_add_f32_e32 v75, v75, v79
	v_fma_f32 v97, -0.5, v77, v74
	v_sub_f32_e32 v77, v78, v82
	v_sub_f32_e32 v85, v0, v4
	v_fmac_f32_e32 v96, 0x3e9e377a, v90
	v_mul_f32_e32 v103, 0xbf4f1bbd, v101
	v_fmac_f32_e32 v99, 0x3f737871, v100
	v_add_f32_e32 v75, v75, v1
	v_sub_f32_e32 v1, v79, v1
	v_mul_f32_e32 v79, 0xbf167918, v101
	v_add_f32_e32 v77, v77, v85
	v_add_f32_e32 v85, v82, v4
	v_fmac_f32_e32 v103, 0x3f167918, v96
	v_fmac_f32_e32 v99, 0x3f167918, v102
	v_add_f32_e32 v75, v75, v5
	v_sub_f32_e32 v5, v83, v5
	v_mov_b32_e32 v83, v97
	v_fmac_f32_e32 v79, 0xbf4f1bbd, v96
	v_fma_f32 v96, -0.5, v85, v74
	v_fmac_f32_e32 v99, 0x3e9e377a, v98
	v_fmac_f32_e32 v83, 0x3f737871, v5
	v_mov_b32_e32 v98, v96
	v_fmac_f32_e32 v97, 0xbf737871, v5
	v_fmac_f32_e32 v83, 0x3f167918, v1
	v_fmac_f32_e32 v98, 0xbf737871, v1
	v_fmac_f32_e32 v96, 0x3f737871, v1
	v_fmac_f32_e32 v97, 0xbf167918, v1
	v_add_f32_e32 v1, v74, v82
	v_sub_f32_e32 v87, v82, v4
	v_mov_b32_e32 v94, v93
	v_add_f32_e32 v1, v1, v78
	v_fmac_f32_e32 v94, 0xbf737871, v87
	v_sub_f32_e32 v89, v78, v0
	v_mov_b32_e32 v145, v144
	v_fmac_f32_e32 v93, 0x3f737871, v87
	v_add_f32_e32 v0, v1, v0
	v_fmac_f32_e32 v94, 0xbf167918, v89
	v_fmac_f32_e32 v145, 0x3f737871, v102
	;; [unrolled: 1-line block ×5, first 2 shown]
	v_add_f32_e32 v74, v0, v4
	v_add_f32_e32 v0, v76, v84
	v_fmac_f32_e32 v94, 0x3e9e377a, v81
	v_mov_b32_e32 v105, v104
	v_fmac_f32_e32 v145, 0xbf167918, v100
	v_fmac_f32_e32 v144, 0x3f167918, v100
	;; [unrolled: 1-line block ×3, first 2 shown]
	v_mul_f32_e32 v81, 0x3f167918, v95
	v_add_f32_e32 v0, v0, v12
	v_fmac_f32_e32 v105, 0x3f737871, v89
	v_fmac_f32_e32 v142, 0x3f167918, v91
	;; [unrolled: 1-line block ×7, first 2 shown]
	v_mul_f32_e32 v99, 0xbf167918, v99
	v_add_f32_e32 v0, v0, v2
	v_fmac_f32_e32 v105, 0xbf167918, v87
	v_fmac_f32_e32 v142, 0x3e9e377a, v137
	v_mul_f32_e32 v146, 0xbe9e377a, v145
	v_fmac_f32_e32 v104, 0x3f167918, v87
	v_fmac_f32_e32 v141, 0x3e9e377a, v137
	v_mul_f32_e32 v137, 0x3e9e377a, v144
	v_fmac_f32_e32 v98, 0x3f167918, v5
	v_mul_f32_e32 v100, 0xbf737871, v145
	;; [unrolled: 2-line block ×3, first 2 shown]
	v_fmac_f32_e32 v97, 0x3e9e377a, v7
	v_fmac_f32_e32 v99, 0x3f4f1bbd, v95
	v_add_f32_e32 v12, v0, v6
	v_fmac_f32_e32 v105, 0x3e9e377a, v92
	v_fmac_f32_e32 v146, 0x3f737871, v142
	;; [unrolled: 1-line block ×4, first 2 shown]
	v_sub_f32_e32 v3, v75, v13
	v_fmac_f32_e32 v83, 0x3e9e377a, v7
	v_fmac_f32_e32 v98, 0x3e9e377a, v77
	;; [unrolled: 1-line block ×5, first 2 shown]
	v_sub_f32_e32 v2, v74, v12
	v_add_f32_e32 v77, v93, v81
	v_add_f32_e32 v75, v75, v13
	;; [unrolled: 1-line block ×4, first 2 shown]
	v_lshl_add_u32 v12, v133, 3, v131
	v_sub_f32_e32 v88, v94, v103
	v_sub_f32_e32 v86, v105, v146
	;; [unrolled: 1-line block ×8, first 2 shown]
	v_add_f32_e32 v1, v94, v103
	v_add_f32_e32 v7, v105, v146
	;; [unrolled: 1-line block ×6, first 2 shown]
	ds_write_b128 v12, v[74:77]
	ds_write_b128 v12, v[4:7] offset:16
	ds_write_b128 v12, v[0:3] offset:32
	;; [unrolled: 1-line block ×4, first 2 shown]
.LBB0_13:
	s_or_b64 exec, exec, s[2:3]
	s_waitcnt lgkmcnt(0)
	s_barrier
	ds_read2_b64 v[4:7], v129 offset1:30
	ds_read2_b64 v[74:77], v129 offset0:60 offset1:90
	ds_read2_b64 v[81:84], v129 offset0:180 offset1:210
	v_add_u32_e32 v3, 0x400, v129
	ds_read2_b64 v[85:88], v3 offset0:112 offset1:142
	v_add_u32_e32 v2, 0x800, v129
	ds_read2_b64 v[89:92], v2 offset0:104 offset1:134
	ds_read2_b64 v[93:96], v129 offset0:120 offset1:150
	;; [unrolled: 1-line block ×3, first 2 shown]
	ds_read_b64 v[12:13], v129 offset:3360
	s_waitcnt lgkmcnt(6)
	v_mul_f32_e32 v78, v31, v77
	v_mul_f32_e32 v31, v31, v76
	v_fmac_f32_e32 v78, v30, v76
	v_fma_f32 v30, v30, v77, -v31
	s_waitcnt lgkmcnt(5)
	v_mul_f32_e32 v31, v33, v82
	v_mul_f32_e32 v33, v33, v81
	v_fmac_f32_e32 v31, v32, v81
	v_fma_f32 v32, v32, v82, -v33
	;; [unrolled: 5-line block ×4, first 2 shown]
	s_waitcnt lgkmcnt(2)
	v_mul_f32_e32 v29, v15, v94
	v_mul_f32_e32 v15, v15, v93
	s_waitcnt lgkmcnt(1)
	v_mul_f32_e32 v81, v9, v98
	v_mul_f32_e32 v9, v9, v97
	v_fmac_f32_e32 v29, v14, v93
	v_fma_f32 v76, v14, v94, -v15
	v_mul_f32_e32 v14, v17, v83
	v_fmac_f32_e32 v81, v8, v97
	v_fma_f32 v82, v8, v98, -v9
	v_mul_f32_e32 v8, v11, v91
	v_mul_f32_e32 v77, v17, v84
	v_fma_f32 v79, v16, v84, -v14
	v_fma_f32 v84, v10, v92, -v8
	v_mul_f32_e32 v8, v23, v95
	v_fmac_f32_e32 v77, v16, v83
	v_mul_f32_e32 v83, v11, v92
	v_fma_f32 v88, v22, v96, -v8
	v_mul_f32_e32 v89, v25, v86
	v_mul_f32_e32 v8, v25, v85
	v_add_f32_e32 v9, v31, v33
	v_fmac_f32_e32 v83, v10, v91
	v_fmac_f32_e32 v89, v24, v85
	v_fma_f32 v85, v24, v86, -v8
	v_mul_f32_e32 v8, v19, v99
	s_waitcnt lgkmcnt(0)
	v_mul_f32_e32 v91, v21, v13
	v_fma_f32 v10, -0.5, v9, v4
	v_fma_f32 v90, v18, v100, -v8
	v_fmac_f32_e32 v91, v20, v12
	v_mul_f32_e32 v8, v21, v12
	v_sub_f32_e32 v9, v30, v28
	v_mov_b32_e32 v12, v10
	v_fma_f32 v92, v20, v13, -v8
	v_fmac_f32_e32 v12, 0xbf737871, v9
	v_sub_f32_e32 v11, v32, v26
	v_sub_f32_e32 v13, v78, v31
	v_sub_f32_e32 v14, v27, v33
	v_fmac_f32_e32 v10, 0x3f737871, v9
	v_fmac_f32_e32 v12, 0xbf167918, v11
	v_add_f32_e32 v13, v13, v14
	v_fmac_f32_e32 v10, 0x3f167918, v11
	v_fmac_f32_e32 v12, 0x3e9e377a, v13
	;; [unrolled: 1-line block ×3, first 2 shown]
	v_add_f32_e32 v13, v78, v27
	v_add_f32_e32 v8, v4, v78
	v_fma_f32 v4, -0.5, v13, v4
	v_mov_b32_e32 v14, v4
	v_fmac_f32_e32 v14, 0x3f737871, v11
	v_sub_f32_e32 v13, v31, v78
	v_sub_f32_e32 v15, v33, v27
	v_fmac_f32_e32 v4, 0xbf737871, v11
	v_add_f32_e32 v11, v32, v26
	v_fmac_f32_e32 v14, 0xbf167918, v9
	v_add_f32_e32 v13, v13, v15
	v_fmac_f32_e32 v4, 0x3f167918, v9
	v_fma_f32 v11, -0.5, v11, v5
	v_mul_f32_e32 v86, v19, v100
	v_fmac_f32_e32 v14, 0x3e9e377a, v13
	v_fmac_f32_e32 v4, 0x3e9e377a, v13
	v_sub_f32_e32 v16, v78, v27
	v_mov_b32_e32 v13, v11
	v_fmac_f32_e32 v86, v18, v99
	v_fmac_f32_e32 v13, 0x3f737871, v16
	v_sub_f32_e32 v17, v31, v33
	v_sub_f32_e32 v15, v30, v32
	v_sub_f32_e32 v18, v28, v26
	v_fmac_f32_e32 v11, 0xbf737871, v16
	v_fmac_f32_e32 v13, 0x3f167918, v17
	v_add_f32_e32 v15, v15, v18
	v_fmac_f32_e32 v11, 0xbf167918, v17
	v_fmac_f32_e32 v13, 0x3e9e377a, v15
	;; [unrolled: 1-line block ×3, first 2 shown]
	v_add_f32_e32 v15, v30, v28
	v_add_f32_e32 v9, v5, v30
	v_fma_f32 v5, -0.5, v15, v5
	v_mov_b32_e32 v15, v5
	v_fmac_f32_e32 v15, 0xbf737871, v17
	v_sub_f32_e32 v18, v32, v30
	v_sub_f32_e32 v19, v26, v28
	v_fmac_f32_e32 v5, 0x3f737871, v17
	v_fmac_f32_e32 v15, 0x3f167918, v16
	v_add_f32_e32 v18, v18, v19
	v_fmac_f32_e32 v5, 0xbf167918, v16
	v_add_f32_e32 v17, v77, v81
	v_fmac_f32_e32 v15, 0x3e9e377a, v18
	v_fmac_f32_e32 v5, 0x3e9e377a, v18
	v_fma_f32 v18, -0.5, v17, v6
	v_mul_f32_e32 v87, v23, v96
	v_sub_f32_e32 v17, v76, v84
	v_mov_b32_e32 v20, v18
	v_fmac_f32_e32 v87, v22, v95
	v_fmac_f32_e32 v20, 0xbf737871, v17
	v_sub_f32_e32 v19, v79, v82
	v_sub_f32_e32 v21, v29, v77
	;; [unrolled: 1-line block ×3, first 2 shown]
	v_fmac_f32_e32 v18, 0x3f737871, v17
	v_fmac_f32_e32 v20, 0xbf167918, v19
	v_add_f32_e32 v21, v21, v22
	v_fmac_f32_e32 v18, 0x3f167918, v19
	v_fmac_f32_e32 v20, 0x3e9e377a, v21
	;; [unrolled: 1-line block ×3, first 2 shown]
	v_add_f32_e32 v21, v29, v83
	v_add_f32_e32 v16, v6, v29
	v_fma_f32 v6, -0.5, v21, v6
	v_mov_b32_e32 v22, v6
	v_fmac_f32_e32 v22, 0x3f737871, v19
	v_sub_f32_e32 v21, v77, v29
	v_sub_f32_e32 v23, v81, v83
	v_fmac_f32_e32 v6, 0xbf737871, v19
	v_add_f32_e32 v19, v79, v82
	v_fmac_f32_e32 v22, 0xbf167918, v17
	v_add_f32_e32 v21, v21, v23
	v_fmac_f32_e32 v6, 0x3f167918, v17
	v_fma_f32 v19, -0.5, v19, v7
	v_add_f32_e32 v9, v9, v32
	v_fmac_f32_e32 v22, 0x3e9e377a, v21
	v_fmac_f32_e32 v6, 0x3e9e377a, v21
	v_sub_f32_e32 v24, v29, v83
	v_mov_b32_e32 v21, v19
	v_add_f32_e32 v9, v9, v26
	v_fmac_f32_e32 v21, 0x3f737871, v24
	v_sub_f32_e32 v25, v77, v81
	v_sub_f32_e32 v23, v76, v79
	;; [unrolled: 1-line block ×3, first 2 shown]
	v_fmac_f32_e32 v19, 0xbf737871, v24
	v_fmac_f32_e32 v21, 0x3f167918, v25
	v_add_f32_e32 v23, v23, v26
	v_fmac_f32_e32 v19, 0xbf167918, v25
	v_fmac_f32_e32 v21, 0x3e9e377a, v23
	;; [unrolled: 1-line block ×3, first 2 shown]
	v_add_f32_e32 v23, v76, v84
	v_add_f32_e32 v8, v8, v31
	;; [unrolled: 1-line block ×3, first 2 shown]
	v_fmac_f32_e32 v7, -0.5, v23
	v_add_f32_e32 v8, v8, v33
	v_mov_b32_e32 v23, v7
	v_add_f32_e32 v8, v8, v27
	v_fmac_f32_e32 v23, 0xbf737871, v25
	v_sub_f32_e32 v26, v79, v76
	v_sub_f32_e32 v27, v82, v84
	v_fmac_f32_e32 v7, 0x3f737871, v25
	v_fmac_f32_e32 v23, 0x3f167918, v24
	v_add_f32_e32 v26, v26, v27
	v_fmac_f32_e32 v7, 0xbf167918, v24
	v_add_f32_e32 v25, v89, v86
	v_fmac_f32_e32 v23, 0x3e9e377a, v26
	v_fmac_f32_e32 v7, 0x3e9e377a, v26
	v_fma_f32 v26, -0.5, v25, v74
	v_add_f32_e32 v9, v9, v28
	v_sub_f32_e32 v25, v88, v92
	v_mov_b32_e32 v28, v26
	v_fmac_f32_e32 v28, 0xbf737871, v25
	v_sub_f32_e32 v27, v85, v90
	v_sub_f32_e32 v29, v87, v89
	;; [unrolled: 1-line block ×3, first 2 shown]
	v_fmac_f32_e32 v26, 0x3f737871, v25
	v_fmac_f32_e32 v28, 0xbf167918, v27
	v_add_f32_e32 v29, v29, v30
	v_fmac_f32_e32 v26, 0x3f167918, v27
	v_fmac_f32_e32 v28, 0x3e9e377a, v29
	;; [unrolled: 1-line block ×3, first 2 shown]
	v_add_f32_e32 v29, v87, v91
	v_add_f32_e32 v24, v74, v87
	v_fma_f32 v74, -0.5, v29, v74
	v_mov_b32_e32 v30, v74
	v_fmac_f32_e32 v30, 0x3f737871, v27
	v_sub_f32_e32 v29, v89, v87
	v_sub_f32_e32 v31, v86, v91
	v_fmac_f32_e32 v74, 0xbf737871, v27
	v_add_f32_e32 v27, v85, v90
	v_fmac_f32_e32 v30, 0xbf167918, v25
	v_add_f32_e32 v29, v29, v31
	v_fmac_f32_e32 v74, 0x3f167918, v25
	v_fma_f32 v27, -0.5, v27, v75
	v_fmac_f32_e32 v30, 0x3e9e377a, v29
	v_fmac_f32_e32 v74, 0x3e9e377a, v29
	v_sub_f32_e32 v32, v87, v91
	v_mov_b32_e32 v29, v27
	v_fmac_f32_e32 v29, 0x3f737871, v32
	v_sub_f32_e32 v33, v89, v86
	v_sub_f32_e32 v31, v88, v85
	;; [unrolled: 1-line block ×3, first 2 shown]
	v_fmac_f32_e32 v27, 0xbf737871, v32
	v_fmac_f32_e32 v29, 0x3f167918, v33
	v_add_f32_e32 v31, v31, v76
	v_fmac_f32_e32 v27, 0xbf167918, v33
	v_fmac_f32_e32 v29, 0x3e9e377a, v31
	;; [unrolled: 1-line block ×3, first 2 shown]
	v_add_f32_e32 v31, v88, v92
	v_add_f32_e32 v25, v75, v88
	v_fmac_f32_e32 v75, -0.5, v31
	v_mov_b32_e32 v31, v75
	v_add_f32_e32 v16, v16, v77
	v_add_f32_e32 v17, v17, v79
	v_add_f32_e32 v24, v24, v89
	v_add_f32_e32 v25, v25, v85
	v_fmac_f32_e32 v31, 0xbf737871, v33
	v_sub_f32_e32 v76, v85, v88
	v_sub_f32_e32 v77, v90, v92
	v_add_f32_e32 v16, v16, v81
	v_add_f32_e32 v17, v17, v82
	;; [unrolled: 1-line block ×4, first 2 shown]
	v_fmac_f32_e32 v31, 0x3f167918, v32
	v_add_f32_e32 v76, v76, v77
	v_fmac_f32_e32 v75, 0x3f737871, v33
	v_add_f32_e32 v16, v16, v83
	v_add_f32_e32 v17, v17, v84
	;; [unrolled: 1-line block ×4, first 2 shown]
	v_fmac_f32_e32 v31, 0x3e9e377a, v76
	v_fmac_f32_e32 v75, 0xbf167918, v32
	;; [unrolled: 1-line block ×3, first 2 shown]
	s_barrier
	ds_write2_b64 v134, v[8:9], v[12:13] offset1:10
	ds_write2_b64 v134, v[14:15], v[4:5] offset0:20 offset1:30
	ds_write_b64 v134, v[10:11] offset:320
	ds_write2_b64 v135, v[16:17], v[20:21] offset1:10
	ds_write2_b64 v135, v[22:23], v[6:7] offset0:20 offset1:30
	ds_write_b64 v135, v[18:19] offset:320
	;; [unrolled: 3-line block ×3, first 2 shown]
	s_waitcnt lgkmcnt(0)
	s_barrier
	ds_read2_b64 v[4:7], v129 offset1:30
	ds_read2_b64 v[8:11], v129 offset0:120 offset1:150
	ds_read2_b64 v[12:15], v2 offset0:44 offset1:74
	ds_read2_b64 v[16:19], v129 offset0:180 offset1:210
	ds_read2_b64 v[20:23], v129 offset0:60 offset1:90
	ds_read2_b64 v[24:27], v2 offset0:104 offset1:134
	ds_read2_b64 v[28:31], v3 offset0:112 offset1:142
	ds_read_b64 v[32:33], v129 offset:3360
	s_waitcnt lgkmcnt(6)
	v_mul_f32_e32 v74, v35, v11
	v_fmac_f32_e32 v74, v34, v10
	v_mul_f32_e32 v10, v35, v10
	v_fma_f32 v34, v34, v11, -v10
	s_waitcnt lgkmcnt(5)
	v_mul_f32_e32 v10, v37, v12
	v_mul_f32_e32 v35, v37, v13
	v_fma_f32 v13, v36, v13, -v10
	s_waitcnt lgkmcnt(4)
	v_mul_f32_e32 v10, v39, v16
	v_fmac_f32_e32 v35, v36, v12
	v_mul_f32_e32 v36, v39, v17
	v_fma_f32 v17, v38, v17, -v10
	v_mul_f32_e32 v10, v41, v14
	v_fmac_f32_e32 v36, v38, v16
	v_mul_f32_e32 v37, v41, v15
	v_fma_f32 v38, v40, v15, -v10
	v_mul_f32_e32 v10, v43, v18
	v_fmac_f32_e32 v37, v40, v14
	v_fma_f32 v40, v42, v19, -v10
	s_waitcnt lgkmcnt(2)
	v_mul_f32_e32 v10, v45, v24
	v_mul_f32_e32 v39, v43, v19
	;; [unrolled: 1-line block ×3, first 2 shown]
	v_fma_f32 v25, v44, v25, -v10
	s_waitcnt lgkmcnt(1)
	v_mul_f32_e32 v10, v47, v28
	v_fmac_f32_e32 v39, v42, v18
	v_mul_f32_e32 v42, v47, v29
	v_fma_f32 v29, v46, v29, -v10
	v_mul_f32_e32 v10, v49, v26
	v_fmac_f32_e32 v41, v44, v24
	v_fma_f32 v44, v48, v27, -v10
	v_mul_f32_e32 v10, v51, v30
	v_fmac_f32_e32 v42, v46, v28
	v_fma_f32 v46, v50, v31, -v10
	s_waitcnt lgkmcnt(0)
	v_mul_f32_e32 v10, v53, v32
	v_add_f32_e32 v11, v74, v35
	v_mul_f32_e32 v47, v53, v33
	v_fma_f32 v33, v52, v33, -v10
	v_add_f32_e32 v10, v4, v74
	v_fma_f32 v4, -0.5, v11, v4
	v_sub_f32_e32 v11, v34, v13
	v_mov_b32_e32 v12, v4
	v_fmac_f32_e32 v12, 0xbf5db3d7, v11
	v_fmac_f32_e32 v4, 0x3f5db3d7, v11
	v_add_f32_e32 v11, v5, v34
	v_add_f32_e32 v11, v11, v13
	;; [unrolled: 1-line block ×3, first 2 shown]
	v_fma_f32 v5, -0.5, v13, v5
	v_sub_f32_e32 v14, v74, v35
	v_mov_b32_e32 v13, v5
	v_add_f32_e32 v15, v36, v37
	v_fmac_f32_e32 v13, 0x3f5db3d7, v14
	v_fmac_f32_e32 v5, 0xbf5db3d7, v14
	v_add_f32_e32 v14, v6, v36
	v_fma_f32 v6, -0.5, v15, v6
	v_sub_f32_e32 v15, v17, v38
	v_mov_b32_e32 v16, v6
	v_fmac_f32_e32 v16, 0xbf5db3d7, v15
	v_fmac_f32_e32 v6, 0x3f5db3d7, v15
	v_add_f32_e32 v15, v7, v17
	v_add_f32_e32 v17, v17, v38
	v_fmac_f32_e32 v7, -0.5, v17
	v_sub_f32_e32 v18, v36, v37
	v_mov_b32_e32 v17, v7
	v_add_f32_e32 v19, v39, v41
	v_fmac_f32_e32 v17, 0x3f5db3d7, v18
	v_fmac_f32_e32 v7, 0xbf5db3d7, v18
	v_add_f32_e32 v18, v20, v39
	v_fma_f32 v20, -0.5, v19, v20
	v_sub_f32_e32 v19, v40, v25
	v_mov_b32_e32 v24, v20
	v_fmac_f32_e32 v24, 0xbf5db3d7, v19
	v_fmac_f32_e32 v20, 0x3f5db3d7, v19
	v_add_f32_e32 v19, v21, v40
	v_mul_f32_e32 v43, v49, v27
	v_add_f32_e32 v19, v19, v25
	v_add_f32_e32 v25, v40, v25
	v_fmac_f32_e32 v43, v48, v26
	v_fma_f32 v21, -0.5, v25, v21
	v_sub_f32_e32 v26, v39, v41
	v_mov_b32_e32 v25, v21
	v_add_f32_e32 v27, v42, v43
	v_fmac_f32_e32 v25, 0x3f5db3d7, v26
	v_fmac_f32_e32 v21, 0xbf5db3d7, v26
	v_add_f32_e32 v26, v22, v42
	v_fma_f32 v22, -0.5, v27, v22
	v_sub_f32_e32 v27, v29, v44
	v_mov_b32_e32 v28, v22
	v_mul_f32_e32 v45, v51, v31
	v_fmac_f32_e32 v28, 0xbf5db3d7, v27
	v_fmac_f32_e32 v22, 0x3f5db3d7, v27
	v_add_f32_e32 v27, v23, v29
	v_add_f32_e32 v29, v29, v44
	v_fmac_f32_e32 v45, v50, v30
	v_fmac_f32_e32 v47, v52, v32
	v_fmac_f32_e32 v23, -0.5, v29
	v_sub_f32_e32 v30, v42, v43
	v_mov_b32_e32 v29, v23
	v_add_f32_e32 v31, v45, v47
	v_fmac_f32_e32 v29, 0x3f5db3d7, v30
	v_fmac_f32_e32 v23, 0xbf5db3d7, v30
	v_add_f32_e32 v30, v8, v45
	v_fma_f32 v8, -0.5, v31, v8
	v_sub_f32_e32 v31, v46, v33
	v_mov_b32_e32 v32, v8
	v_fmac_f32_e32 v32, 0xbf5db3d7, v31
	v_fmac_f32_e32 v8, 0x3f5db3d7, v31
	v_add_f32_e32 v31, v9, v46
	v_add_f32_e32 v31, v31, v33
	v_add_f32_e32 v33, v46, v33
	v_fmac_f32_e32 v9, -0.5, v33
	v_add_f32_e32 v10, v10, v35
	v_sub_f32_e32 v34, v45, v47
	v_mov_b32_e32 v33, v9
	v_add_f32_e32 v14, v14, v37
	v_add_f32_e32 v15, v15, v38
	;; [unrolled: 1-line block ×6, first 2 shown]
	v_fmac_f32_e32 v33, 0x3f5db3d7, v34
	v_fmac_f32_e32 v9, 0xbf5db3d7, v34
	s_barrier
	ds_write2_b64 v129, v[10:11], v[12:13] offset1:50
	ds_write_b64 v129, v[4:5] offset:800
	ds_write2_b64 v138, v[14:15], v[16:17] offset1:50
	ds_write_b64 v138, v[6:7] offset:800
	ds_write2_b64 v129, v[18:19], v[24:25] offset0:160 offset1:210
	ds_write_b64 v129, v[20:21] offset:2080
	ds_write2_b64 v139, v[26:27], v[28:29] offset1:50
	ds_write_b64 v139, v[22:23] offset:800
	v_add_u32_e32 v4, 0x800, v140
	ds_write2_b64 v4, v[30:31], v[32:33] offset0:44 offset1:94
	ds_write_b64 v140, v[8:9] offset:3200
	s_waitcnt lgkmcnt(0)
	s_barrier
	ds_read2_b64 v[4:7], v129 offset1:30
	ds_read2_b64 v[8:11], v129 offset0:120 offset1:150
	ds_read2_b64 v[12:15], v2 offset0:44 offset1:74
	;; [unrolled: 1-line block ×6, first 2 shown]
	ds_read_b64 v[32:33], v129 offset:3360
	s_waitcnt lgkmcnt(6)
	v_mul_f32_e32 v3, v55, v10
	v_mul_f32_e32 v34, v55, v11
	v_fma_f32 v11, v54, v11, -v3
	s_waitcnt lgkmcnt(5)
	v_mul_f32_e32 v3, v57, v12
	v_mul_f32_e32 v35, v57, v13
	v_fma_f32 v13, v56, v13, -v3
	;; [unrolled: 4-line block ×3, first 2 shown]
	v_mul_f32_e32 v3, v61, v14
	v_fma_f32 v38, v60, v15, -v3
	v_mul_f32_e32 v3, v63, v18
	v_fma_f32 v40, v62, v19, -v3
	s_waitcnt lgkmcnt(2)
	v_mul_f32_e32 v3, v65, v24
	v_mul_f32_e32 v41, v65, v25
	v_fma_f32 v25, v64, v25, -v3
	s_waitcnt lgkmcnt(1)
	v_mul_f32_e32 v3, v67, v28
	v_fmac_f32_e32 v34, v54, v10
	v_fmac_f32_e32 v35, v56, v12
	v_mul_f32_e32 v42, v67, v29
	v_fma_f32 v29, v66, v29, -v3
	v_mul_f32_e32 v3, v69, v26
	v_fma_f32 v44, v68, v27, -v3
	v_mul_f32_e32 v3, v71, v30
	v_add_f32_e32 v10, v34, v35
	v_fma_f32 v46, v70, v31, -v3
	s_waitcnt lgkmcnt(0)
	v_mul_f32_e32 v3, v73, v32
	v_fma_f32 v10, -0.5, v10, v4
	v_mul_f32_e32 v47, v73, v33
	v_fma_f32 v33, v72, v33, -v3
	v_add_f32_e32 v3, v4, v34
	v_sub_f32_e32 v4, v11, v13
	v_mov_b32_e32 v12, v10
	v_fmac_f32_e32 v12, 0xbf5db3d7, v4
	v_fmac_f32_e32 v10, 0x3f5db3d7, v4
	v_add_f32_e32 v4, v5, v11
	v_add_f32_e32 v11, v11, v13
	v_fma_f32 v11, -0.5, v11, v5
	v_fmac_f32_e32 v36, v58, v16
	v_mul_f32_e32 v37, v61, v15
	v_add_f32_e32 v4, v4, v13
	v_sub_f32_e32 v5, v34, v35
	v_mov_b32_e32 v13, v11
	v_fmac_f32_e32 v37, v60, v14
	v_fmac_f32_e32 v13, 0x3f5db3d7, v5
	;; [unrolled: 1-line block ×3, first 2 shown]
	v_add_f32_e32 v5, v6, v36
	v_add_f32_e32 v14, v5, v37
	;; [unrolled: 1-line block ×3, first 2 shown]
	v_fma_f32 v6, -0.5, v5, v6
	v_sub_f32_e32 v5, v17, v38
	v_mov_b32_e32 v16, v6
	v_fmac_f32_e32 v16, 0xbf5db3d7, v5
	v_fmac_f32_e32 v6, 0x3f5db3d7, v5
	v_add_f32_e32 v5, v7, v17
	v_add_f32_e32 v15, v5, v38
	;; [unrolled: 1-line block ×3, first 2 shown]
	v_mul_f32_e32 v39, v63, v19
	v_fmac_f32_e32 v7, -0.5, v5
	v_fmac_f32_e32 v39, v62, v18
	v_sub_f32_e32 v5, v36, v37
	v_mov_b32_e32 v17, v7
	v_fmac_f32_e32 v41, v64, v24
	v_fmac_f32_e32 v17, 0x3f5db3d7, v5
	;; [unrolled: 1-line block ×3, first 2 shown]
	v_add_f32_e32 v5, v20, v39
	v_add_f32_e32 v18, v5, v41
	;; [unrolled: 1-line block ×3, first 2 shown]
	v_fma_f32 v20, -0.5, v5, v20
	v_sub_f32_e32 v5, v40, v25
	v_mov_b32_e32 v24, v20
	v_fmac_f32_e32 v24, 0xbf5db3d7, v5
	v_fmac_f32_e32 v20, 0x3f5db3d7, v5
	v_add_f32_e32 v5, v21, v40
	v_add_f32_e32 v19, v5, v25
	;; [unrolled: 1-line block ×3, first 2 shown]
	v_fma_f32 v21, -0.5, v5, v21
	v_fmac_f32_e32 v42, v66, v28
	v_mul_f32_e32 v43, v69, v27
	v_sub_f32_e32 v5, v39, v41
	v_mov_b32_e32 v25, v21
	v_fmac_f32_e32 v43, v68, v26
	v_fmac_f32_e32 v25, 0x3f5db3d7, v5
	;; [unrolled: 1-line block ×3, first 2 shown]
	v_add_f32_e32 v5, v22, v42
	v_add_f32_e32 v26, v5, v43
	;; [unrolled: 1-line block ×3, first 2 shown]
	v_fma_f32 v22, -0.5, v5, v22
	v_sub_f32_e32 v5, v29, v44
	v_mov_b32_e32 v28, v22
	v_fmac_f32_e32 v28, 0xbf5db3d7, v5
	v_fmac_f32_e32 v22, 0x3f5db3d7, v5
	v_add_f32_e32 v5, v23, v29
	v_add_f32_e32 v27, v5, v44
	;; [unrolled: 1-line block ×3, first 2 shown]
	v_mul_f32_e32 v45, v71, v31
	v_fmac_f32_e32 v23, -0.5, v5
	v_fmac_f32_e32 v45, v70, v30
	v_sub_f32_e32 v5, v42, v43
	v_mov_b32_e32 v29, v23
	v_fmac_f32_e32 v47, v72, v32
	v_fmac_f32_e32 v29, 0x3f5db3d7, v5
	;; [unrolled: 1-line block ×3, first 2 shown]
	v_add_f32_e32 v5, v8, v45
	v_add_f32_e32 v30, v5, v47
	;; [unrolled: 1-line block ×3, first 2 shown]
	v_fma_f32 v8, -0.5, v5, v8
	v_sub_f32_e32 v5, v46, v33
	v_mov_b32_e32 v32, v8
	v_fmac_f32_e32 v32, 0xbf5db3d7, v5
	v_fmac_f32_e32 v8, 0x3f5db3d7, v5
	v_add_f32_e32 v5, v9, v46
	v_add_f32_e32 v31, v5, v33
	;; [unrolled: 1-line block ×4, first 2 shown]
	v_fmac_f32_e32 v9, -0.5, v5
	v_sub_f32_e32 v5, v45, v47
	v_mov_b32_e32 v33, v9
	ds_write_b64 v129, v[3:4]
	ds_write2_b64 v132, v[12:13], v[16:17] offset0:150 offset1:180
	v_add_u32_e32 v3, 0x800, v132
	v_fmac_f32_e32 v33, 0x3f5db3d7, v5
	v_fmac_f32_e32 v9, 0xbf5db3d7, v5
	ds_write2_b64 v3, v[10:11], v[6:7] offset0:44 offset1:74
	ds_write2_b64 v132, v[14:15], v[18:19] offset0:30 offset1:60
	ds_write_b64 v132, v[24:25] offset:1680
	ds_write_b64 v132, v[20:21] offset:2880
	;; [unrolled: 1-line block ×6, first 2 shown]
	v_add_u32_e32 v3, 0x400, v80
	ds_write2_b64 v3, v[32:33], v[8:9] offset0:22 offset1:172
	s_waitcnt lgkmcnt(0)
	s_barrier
	ds_read2_b64 v[3:6], v129 offset1:45
	v_mad_u64_u32 v[0:1], s[2:3], s10, v116, 0
	s_mov_b32 s2, 0x789abcdf
	s_mov_b32 s3, 0x3f623456
	s_waitcnt lgkmcnt(0)
	v_mul_f32_e32 v7, v126, v4
	v_fmac_f32_e32 v7, v125, v3
	v_mul_f32_e32 v3, v126, v3
	v_fma_f32 v3, v125, v4, -v3
	v_cvt_f64_f32_e32 v[7:8], v7
	v_cvt_f64_f32_e32 v[3:4], v3
	v_mad_u64_u32 v[9:10], s[4:5], s8, v130, 0
	v_mul_f64 v[7:8], v[7:8], s[2:3]
	v_mul_f64 v[3:4], v[3:4], s[2:3]
	v_mad_u64_u32 v[11:12], s[4:5], s11, v116, v[1:2]
	v_mov_b32_e32 v1, v10
	v_mad_u64_u32 v[12:13], s[4:5], s9, v130, v[1:2]
	v_mov_b32_e32 v1, v11
	v_cvt_f32_f64_e32 v7, v[7:8]
	v_cvt_f32_f64_e32 v8, v[3:4]
	v_mul_f32_e32 v3, v128, v6
	v_fmac_f32_e32 v3, v127, v5
	v_mul_f32_e32 v5, v128, v5
	v_fma_f32 v5, v127, v6, -v5
	v_cvt_f64_f32_e32 v[3:4], v3
	v_cvt_f64_f32_e32 v[5:6], v5
	v_lshlrev_b64 v[0:1], 3, v[0:1]
	v_mov_b32_e32 v10, v12
	v_mov_b32_e32 v11, s7
	v_add_co_u32_e32 v12, vcc, s6, v0
	v_addc_co_u32_e32 v11, vcc, v11, v1, vcc
	v_mul_f64 v[0:1], v[3:4], s[2:3]
	v_mul_f64 v[3:4], v[5:6], s[2:3]
	v_lshlrev_b64 v[5:6], 3, v[9:10]
	s_mul_i32 s4, s9, 45
	v_add_co_u32_e32 v9, vcc, v12, v5
	v_addc_co_u32_e32 v10, vcc, v11, v6, vcc
	v_cvt_f32_f64_e32 v0, v[0:1]
	v_cvt_f32_f64_e32 v1, v[3:4]
	ds_read2_b64 v[3:6], v129 offset0:90 offset1:135
	global_store_dwordx2 v[9:10], v[7:8], off
	s_mul_hi_u32 s5, s8, 45
	s_add_i32 s5, s5, s4
	s_mul_i32 s4, s8, 45
	s_waitcnt lgkmcnt(0)
	v_mul_f32_e32 v7, v124, v4
	v_fmac_f32_e32 v7, v123, v3
	v_mul_f32_e32 v3, v124, v3
	v_cvt_f64_f32_e32 v[7:8], v7
	v_fma_f32 v3, v123, v4, -v3
	s_lshl_b64 s[4:5], s[4:5], 3
	v_cvt_f64_f32_e32 v[3:4], v3
	v_mov_b32_e32 v13, s5
	v_add_co_u32_e32 v9, vcc, s4, v9
	v_addc_co_u32_e32 v10, vcc, v10, v13, vcc
	global_store_dwordx2 v[9:10], v[0:1], off
	v_mul_f64 v[0:1], v[7:8], s[2:3]
	v_mul_f32_e32 v7, v120, v6
	v_mul_f64 v[3:4], v[3:4], s[2:3]
	v_fmac_f32_e32 v7, v119, v5
	v_cvt_f64_f32_e32 v[7:8], v7
	v_mul_f32_e32 v5, v120, v5
	v_fma_f32 v5, v119, v6, -v5
	v_cvt_f64_f32_e32 v[5:6], v5
	v_mul_f64 v[7:8], v[7:8], s[2:3]
	v_cvt_f32_f64_e32 v0, v[0:1]
	v_cvt_f32_f64_e32 v1, v[3:4]
	v_mul_f64 v[11:12], v[5:6], s[2:3]
	ds_read2_b64 v[3:6], v129 offset0:180 offset1:225
	v_add_co_u32_e32 v9, vcc, s4, v9
	v_addc_co_u32_e32 v10, vcc, v10, v13, vcc
	global_store_dwordx2 v[9:10], v[0:1], off
	v_cvt_f32_f64_e32 v0, v[7:8]
	s_waitcnt lgkmcnt(0)
	v_mul_f32_e32 v7, v122, v4
	v_fmac_f32_e32 v7, v121, v3
	v_mul_f32_e32 v3, v122, v3
	v_cvt_f32_f64_e32 v1, v[11:12]
	v_cvt_f64_f32_e32 v[7:8], v7
	v_fma_f32 v3, v121, v4, -v3
	v_cvt_f64_f32_e32 v[3:4], v3
	v_add_co_u32_e32 v9, vcc, s4, v9
	v_addc_co_u32_e32 v10, vcc, v10, v13, vcc
	global_store_dwordx2 v[9:10], v[0:1], off
	v_mul_f64 v[0:1], v[7:8], s[2:3]
	v_mul_f32_e32 v7, v118, v6
	v_mul_f64 v[3:4], v[3:4], s[2:3]
	v_fmac_f32_e32 v7, v117, v5
	v_cvt_f64_f32_e32 v[7:8], v7
	v_mul_f32_e32 v5, v118, v5
	v_fma_f32 v5, v117, v6, -v5
	v_cvt_f64_f32_e32 v[5:6], v5
	v_mul_f64 v[7:8], v[7:8], s[2:3]
	v_cvt_f32_f64_e32 v0, v[0:1]
	v_cvt_f32_f64_e32 v1, v[3:4]
	v_mul_f64 v[11:12], v[5:6], s[2:3]
	ds_read2_b64 v[3:6], v2 offset0:14 offset1:59
	v_add_co_u32_e32 v9, vcc, s4, v9
	v_addc_co_u32_e32 v10, vcc, v10, v13, vcc
	global_store_dwordx2 v[9:10], v[0:1], off
	v_cvt_f32_f64_e32 v0, v[7:8]
	s_waitcnt lgkmcnt(0)
	v_mul_f32_e32 v7, v115, v4
	v_fmac_f32_e32 v7, v114, v3
	v_mul_f32_e32 v3, v115, v3
	v_cvt_f32_f64_e32 v1, v[11:12]
	v_cvt_f64_f32_e32 v[7:8], v7
	v_fma_f32 v3, v114, v4, -v3
	v_cvt_f64_f32_e32 v[3:4], v3
	v_add_co_u32_e32 v9, vcc, s4, v9
	v_addc_co_u32_e32 v10, vcc, v10, v13, vcc
	global_store_dwordx2 v[9:10], v[0:1], off
	v_mul_f64 v[0:1], v[7:8], s[2:3]
	v_mul_f32_e32 v7, v113, v6
	v_mul_f64 v[3:4], v[3:4], s[2:3]
	v_fmac_f32_e32 v7, v112, v5
	v_cvt_f64_f32_e32 v[7:8], v7
	v_mul_f32_e32 v5, v113, v5
	v_fma_f32 v5, v112, v6, -v5
	v_cvt_f64_f32_e32 v[5:6], v5
	v_mul_f64 v[7:8], v[7:8], s[2:3]
	v_cvt_f32_f64_e32 v0, v[0:1]
	v_cvt_f32_f64_e32 v1, v[3:4]
	v_mul_f64 v[11:12], v[5:6], s[2:3]
	ds_read2_b64 v[3:6], v2 offset0:104 offset1:149
	v_add_co_u32_e32 v9, vcc, s4, v9
	v_addc_co_u32_e32 v10, vcc, v10, v13, vcc
	global_store_dwordx2 v[9:10], v[0:1], off
	v_cvt_f32_f64_e32 v0, v[7:8]
	s_waitcnt lgkmcnt(0)
	v_mul_f32_e32 v7, v111, v4
	v_fmac_f32_e32 v7, v110, v3
	v_cvt_f64_f32_e32 v[7:8], v7
	v_mul_f32_e32 v3, v111, v3
	v_cvt_f32_f64_e32 v1, v[11:12]
	v_fma_f32 v3, v110, v4, -v3
	v_mul_f64 v[7:8], v[7:8], s[2:3]
	v_mul_f32_e32 v11, v109, v6
	v_cvt_f64_f32_e32 v[3:4], v3
	v_fmac_f32_e32 v11, v108, v5
	v_mul_f32_e32 v5, v109, v5
	v_fma_f32 v5, v108, v6, -v5
	v_cvt_f64_f32_e32 v[11:12], v11
	v_cvt_f64_f32_e32 v[5:6], v5
	v_add_co_u32_e32 v9, vcc, s4, v9
	v_mul_f64 v[3:4], v[3:4], s[2:3]
	v_addc_co_u32_e32 v10, vcc, v10, v13, vcc
	global_store_dwordx2 v[9:10], v[0:1], off
	v_cvt_f32_f64_e32 v0, v[7:8]
	v_mul_f64 v[7:8], v[11:12], s[2:3]
	v_mul_f64 v[5:6], v[5:6], s[2:3]
	v_cvt_f32_f64_e32 v1, v[3:4]
	v_add_co_u32_e32 v3, vcc, s4, v9
	v_addc_co_u32_e32 v4, vcc, v10, v13, vcc
	v_cvt_f32_f64_e32 v7, v[7:8]
	v_cvt_f32_f64_e32 v8, v[5:6]
	global_store_dwordx2 v[3:4], v[0:1], off
	v_add_co_u32_e32 v0, vcc, s4, v3
	v_addc_co_u32_e32 v1, vcc, v4, v13, vcc
	global_store_dwordx2 v[0:1], v[7:8], off
	s_and_b64 exec, exec, s[0:1]
	s_cbranch_execz .LBB0_15
; %bb.14:
	global_load_dwordx2 v[7:8], v[106:107], off offset:240
	ds_read2_b64 v[3:6], v132 offset0:30 offset1:120
	s_waitcnt vmcnt(0) lgkmcnt(0)
	v_mul_f32_e32 v9, v4, v8
	v_mul_f32_e32 v8, v3, v8
	v_fmac_f32_e32 v9, v3, v7
	v_fma_f32 v7, v7, v4, -v8
	v_cvt_f64_f32_e32 v[3:4], v9
	v_cvt_f64_f32_e32 v[7:8], v7
	v_mov_b32_e32 v9, 0xfffff448
	v_mad_u64_u32 v[0:1], s[0:1], s8, v9, v[0:1]
	v_mul_f64 v[3:4], v[3:4], s[2:3]
	v_mul_f64 v[7:8], v[7:8], s[2:3]
	s_mul_i32 s0, s9, 0xfffff448
	s_sub_i32 s0, s0, s8
	v_add_u32_e32 v1, s0, v1
	v_cvt_f32_f64_e32 v3, v[3:4]
	v_cvt_f32_f64_e32 v4, v[7:8]
	ds_read2_b64 v[7:10], v129 offset0:75 offset1:165
	global_store_dwordx2 v[0:1], v[3:4], off
	global_load_dwordx2 v[3:4], v[106:107], off offset:600
	v_add_co_u32_e32 v0, vcc, s4, v0
	s_waitcnt vmcnt(0) lgkmcnt(0)
	v_mul_f32_e32 v11, v8, v4
	v_mul_f32_e32 v4, v7, v4
	v_fmac_f32_e32 v11, v7, v3
	v_fma_f32 v7, v3, v8, -v4
	v_cvt_f64_f32_e32 v[3:4], v11
	v_cvt_f64_f32_e32 v[7:8], v7
	v_mov_b32_e32 v11, s5
	v_addc_co_u32_e32 v1, vcc, v1, v11, vcc
	v_mul_f64 v[3:4], v[3:4], s[2:3]
	v_mul_f64 v[7:8], v[7:8], s[2:3]
	v_cvt_f32_f64_e32 v3, v[3:4]
	v_cvt_f32_f64_e32 v4, v[7:8]
	global_store_dwordx2 v[0:1], v[3:4], off
	global_load_dwordx2 v[3:4], v[106:107], off offset:960
	v_add_co_u32_e32 v0, vcc, s4, v0
	v_addc_co_u32_e32 v1, vcc, v1, v11, vcc
	s_waitcnt vmcnt(0)
	v_mul_f32_e32 v7, v6, v4
	v_mul_f32_e32 v4, v5, v4
	v_fmac_f32_e32 v7, v5, v3
	v_fma_f32 v5, v3, v6, -v4
	v_cvt_f64_f32_e32 v[3:4], v7
	v_cvt_f64_f32_e32 v[5:6], v5
	v_mul_f64 v[3:4], v[3:4], s[2:3]
	v_mul_f64 v[5:6], v[5:6], s[2:3]
	v_cvt_f32_f64_e32 v3, v[3:4]
	v_cvt_f32_f64_e32 v4, v[5:6]
	global_store_dwordx2 v[0:1], v[3:4], off
	global_load_dwordx2 v[3:4], v[106:107], off offset:1320
	v_add_co_u32_e32 v0, vcc, s4, v0
	v_addc_co_u32_e32 v1, vcc, v1, v11, vcc
	s_waitcnt vmcnt(0)
	v_mul_f32_e32 v5, v10, v4
	v_mul_f32_e32 v4, v9, v4
	v_fmac_f32_e32 v5, v9, v3
	v_fma_f32 v6, v3, v10, -v4
	v_cvt_f64_f32_e32 v[3:4], v5
	v_cvt_f64_f32_e32 v[5:6], v6
	v_mul_f64 v[3:4], v[3:4], s[2:3]
	v_mul_f64 v[5:6], v[5:6], s[2:3]
	v_cvt_f32_f64_e32 v3, v[3:4]
	v_cvt_f32_f64_e32 v4, v[5:6]
	global_store_dwordx2 v[0:1], v[3:4], off
	global_load_dwordx2 v[7:8], v[106:107], off offset:1680
	ds_read2_b64 v[3:6], v129 offset0:210 offset1:255
	v_add_co_u32_e32 v0, vcc, s4, v0
	v_addc_co_u32_e32 v1, vcc, v1, v11, vcc
	s_waitcnt vmcnt(0) lgkmcnt(0)
	v_mul_f32_e32 v9, v4, v8
	v_mul_f32_e32 v8, v3, v8
	v_fmac_f32_e32 v9, v3, v7
	v_fma_f32 v7, v7, v4, -v8
	v_cvt_f64_f32_e32 v[3:4], v9
	v_cvt_f64_f32_e32 v[7:8], v7
	v_mul_f64 v[3:4], v[3:4], s[2:3]
	v_mul_f64 v[7:8], v[7:8], s[2:3]
	v_cvt_f32_f64_e32 v3, v[3:4]
	v_cvt_f32_f64_e32 v4, v[7:8]
	global_store_dwordx2 v[0:1], v[3:4], off
	global_load_dwordx2 v[3:4], v[106:107], off offset:2040
	v_add_co_u32_e32 v0, vcc, s4, v0
	v_addc_co_u32_e32 v1, vcc, v1, v11, vcc
	s_waitcnt vmcnt(0)
	v_mul_f32_e32 v7, v6, v4
	v_mul_f32_e32 v4, v5, v4
	v_fmac_f32_e32 v7, v5, v3
	v_fma_f32 v5, v3, v6, -v4
	v_cvt_f64_f32_e32 v[3:4], v7
	v_cvt_f64_f32_e32 v[5:6], v5
	v_mul_f64 v[3:4], v[3:4], s[2:3]
	v_mul_f64 v[5:6], v[5:6], s[2:3]
	v_cvt_f32_f64_e32 v3, v[3:4]
	v_cvt_f32_f64_e32 v4, v[5:6]
	global_store_dwordx2 v[0:1], v[3:4], off
	global_load_dwordx2 v[7:8], v[106:107], off offset:2400
	ds_read2_b64 v[3:6], v2 offset0:44 offset1:89
	v_add_co_u32_e32 v0, vcc, s4, v0
	v_addc_co_u32_e32 v1, vcc, v1, v11, vcc
	s_waitcnt vmcnt(0) lgkmcnt(0)
	v_mul_f32_e32 v9, v4, v8
	v_mul_f32_e32 v8, v3, v8
	v_fmac_f32_e32 v9, v3, v7
	v_fma_f32 v7, v7, v4, -v8
	v_cvt_f64_f32_e32 v[3:4], v9
	v_cvt_f64_f32_e32 v[7:8], v7
	v_mul_f64 v[3:4], v[3:4], s[2:3]
	v_mul_f64 v[7:8], v[7:8], s[2:3]
	v_cvt_f32_f64_e32 v3, v[3:4]
	v_cvt_f32_f64_e32 v4, v[7:8]
	global_store_dwordx2 v[0:1], v[3:4], off
	global_load_dwordx2 v[3:4], v[106:107], off offset:2760
	s_waitcnt vmcnt(0)
	v_mul_f32_e32 v7, v6, v4
	v_mul_f32_e32 v4, v5, v4
	v_fmac_f32_e32 v7, v5, v3
	v_fma_f32 v5, v3, v6, -v4
	v_cvt_f64_f32_e32 v[3:4], v7
	v_cvt_f64_f32_e32 v[5:6], v5
	v_mul_f64 v[3:4], v[3:4], s[2:3]
	v_mul_f64 v[5:6], v[5:6], s[2:3]
	v_cvt_f32_f64_e32 v3, v[3:4]
	v_cvt_f32_f64_e32 v4, v[5:6]
	v_add_co_u32_e32 v5, vcc, s4, v0
	v_addc_co_u32_e32 v6, vcc, v1, v11, vcc
	global_store_dwordx2 v[5:6], v[3:4], off
	global_load_dwordx2 v[7:8], v[106:107], off offset:3120
	ds_read2_b64 v[0:3], v2 offset0:134 offset1:179
	s_waitcnt vmcnt(0) lgkmcnt(0)
	v_mul_f32_e32 v4, v1, v8
	v_mul_f32_e32 v8, v0, v8
	v_fmac_f32_e32 v4, v0, v7
	v_fma_f32 v7, v7, v1, -v8
	v_cvt_f64_f32_e32 v[0:1], v4
	v_cvt_f64_f32_e32 v[7:8], v7
	v_add_co_u32_e32 v4, vcc, s4, v5
	v_mul_f64 v[0:1], v[0:1], s[2:3]
	v_mul_f64 v[7:8], v[7:8], s[2:3]
	v_addc_co_u32_e32 v5, vcc, v6, v11, vcc
	v_cvt_f32_f64_e32 v0, v[0:1]
	v_cvt_f32_f64_e32 v1, v[7:8]
	global_store_dwordx2 v[4:5], v[0:1], off
	global_load_dwordx2 v[0:1], v[106:107], off offset:3480
	s_waitcnt vmcnt(0)
	v_mul_f32_e32 v6, v3, v1
	v_mul_f32_e32 v1, v2, v1
	v_fmac_f32_e32 v6, v2, v0
	v_fma_f32 v2, v0, v3, -v1
	v_cvt_f64_f32_e32 v[0:1], v6
	v_cvt_f64_f32_e32 v[2:3], v2
	v_mul_f64 v[0:1], v[0:1], s[2:3]
	v_mul_f64 v[2:3], v[2:3], s[2:3]
	v_cvt_f32_f64_e32 v0, v[0:1]
	v_cvt_f32_f64_e32 v1, v[2:3]
	v_add_co_u32_e32 v2, vcc, s4, v4
	v_addc_co_u32_e32 v3, vcc, v5, v11, vcc
	global_store_dwordx2 v[2:3], v[0:1], off
.LBB0_15:
	s_endpgm
	.section	.rodata,"a",@progbits
	.p2align	6, 0x0
	.amdhsa_kernel bluestein_single_fwd_len450_dim1_sp_op_CI_CI
		.amdhsa_group_segment_fixed_size 14400
		.amdhsa_private_segment_fixed_size 0
		.amdhsa_kernarg_size 104
		.amdhsa_user_sgpr_count 6
		.amdhsa_user_sgpr_private_segment_buffer 1
		.amdhsa_user_sgpr_dispatch_ptr 0
		.amdhsa_user_sgpr_queue_ptr 0
		.amdhsa_user_sgpr_kernarg_segment_ptr 1
		.amdhsa_user_sgpr_dispatch_id 0
		.amdhsa_user_sgpr_flat_scratch_init 0
		.amdhsa_user_sgpr_private_segment_size 0
		.amdhsa_uses_dynamic_stack 0
		.amdhsa_system_sgpr_private_segment_wavefront_offset 0
		.amdhsa_system_sgpr_workgroup_id_x 1
		.amdhsa_system_sgpr_workgroup_id_y 0
		.amdhsa_system_sgpr_workgroup_id_z 0
		.amdhsa_system_sgpr_workgroup_info 0
		.amdhsa_system_vgpr_workitem_id 0
		.amdhsa_next_free_vgpr 173
		.amdhsa_next_free_sgpr 20
		.amdhsa_reserve_vcc 1
		.amdhsa_reserve_flat_scratch 0
		.amdhsa_float_round_mode_32 0
		.amdhsa_float_round_mode_16_64 0
		.amdhsa_float_denorm_mode_32 3
		.amdhsa_float_denorm_mode_16_64 3
		.amdhsa_dx10_clamp 1
		.amdhsa_ieee_mode 1
		.amdhsa_fp16_overflow 0
		.amdhsa_exception_fp_ieee_invalid_op 0
		.amdhsa_exception_fp_denorm_src 0
		.amdhsa_exception_fp_ieee_div_zero 0
		.amdhsa_exception_fp_ieee_overflow 0
		.amdhsa_exception_fp_ieee_underflow 0
		.amdhsa_exception_fp_ieee_inexact 0
		.amdhsa_exception_int_div_zero 0
	.end_amdhsa_kernel
	.text
.Lfunc_end0:
	.size	bluestein_single_fwd_len450_dim1_sp_op_CI_CI, .Lfunc_end0-bluestein_single_fwd_len450_dim1_sp_op_CI_CI
                                        ; -- End function
	.section	.AMDGPU.csdata,"",@progbits
; Kernel info:
; codeLenInByte = 14784
; NumSgprs: 24
; NumVgprs: 173
; ScratchSize: 0
; MemoryBound: 0
; FloatMode: 240
; IeeeMode: 1
; LDSByteSize: 14400 bytes/workgroup (compile time only)
; SGPRBlocks: 2
; VGPRBlocks: 43
; NumSGPRsForWavesPerEU: 24
; NumVGPRsForWavesPerEU: 173
; Occupancy: 1
; WaveLimiterHint : 1
; COMPUTE_PGM_RSRC2:SCRATCH_EN: 0
; COMPUTE_PGM_RSRC2:USER_SGPR: 6
; COMPUTE_PGM_RSRC2:TRAP_HANDLER: 0
; COMPUTE_PGM_RSRC2:TGID_X_EN: 1
; COMPUTE_PGM_RSRC2:TGID_Y_EN: 0
; COMPUTE_PGM_RSRC2:TGID_Z_EN: 0
; COMPUTE_PGM_RSRC2:TIDIG_COMP_CNT: 0
	.type	__hip_cuid_40f9b795ea46a397,@object ; @__hip_cuid_40f9b795ea46a397
	.section	.bss,"aw",@nobits
	.globl	__hip_cuid_40f9b795ea46a397
__hip_cuid_40f9b795ea46a397:
	.byte	0                               ; 0x0
	.size	__hip_cuid_40f9b795ea46a397, 1

	.ident	"AMD clang version 19.0.0git (https://github.com/RadeonOpenCompute/llvm-project roc-6.4.0 25133 c7fe45cf4b819c5991fe208aaa96edf142730f1d)"
	.section	".note.GNU-stack","",@progbits
	.addrsig
	.addrsig_sym __hip_cuid_40f9b795ea46a397
	.amdgpu_metadata
---
amdhsa.kernels:
  - .args:
      - .actual_access:  read_only
        .address_space:  global
        .offset:         0
        .size:           8
        .value_kind:     global_buffer
      - .actual_access:  read_only
        .address_space:  global
        .offset:         8
        .size:           8
        .value_kind:     global_buffer
      - .actual_access:  read_only
        .address_space:  global
        .offset:         16
        .size:           8
        .value_kind:     global_buffer
      - .actual_access:  read_only
        .address_space:  global
        .offset:         24
        .size:           8
        .value_kind:     global_buffer
      - .actual_access:  read_only
        .address_space:  global
        .offset:         32
        .size:           8
        .value_kind:     global_buffer
      - .offset:         40
        .size:           8
        .value_kind:     by_value
      - .address_space:  global
        .offset:         48
        .size:           8
        .value_kind:     global_buffer
      - .address_space:  global
        .offset:         56
        .size:           8
        .value_kind:     global_buffer
      - .address_space:  global
        .offset:         64
        .size:           8
        .value_kind:     global_buffer
      - .address_space:  global
        .offset:         72
        .size:           8
        .value_kind:     global_buffer
      - .offset:         80
        .size:           4
        .value_kind:     by_value
      - .address_space:  global
        .offset:         88
        .size:           8
        .value_kind:     global_buffer
      - .address_space:  global
        .offset:         96
        .size:           8
        .value_kind:     global_buffer
    .group_segment_fixed_size: 14400
    .kernarg_segment_align: 8
    .kernarg_segment_size: 104
    .language:       OpenCL C
    .language_version:
      - 2
      - 0
    .max_flat_workgroup_size: 120
    .name:           bluestein_single_fwd_len450_dim1_sp_op_CI_CI
    .private_segment_fixed_size: 0
    .sgpr_count:     24
    .sgpr_spill_count: 0
    .symbol:         bluestein_single_fwd_len450_dim1_sp_op_CI_CI.kd
    .uniform_work_group_size: 1
    .uses_dynamic_stack: false
    .vgpr_count:     173
    .vgpr_spill_count: 0
    .wavefront_size: 64
amdhsa.target:   amdgcn-amd-amdhsa--gfx906
amdhsa.version:
  - 1
  - 2
...

	.end_amdgpu_metadata
